;; amdgpu-corpus repo=ROCm/rocFFT kind=compiled arch=gfx906 opt=O3
	.text
	.amdgcn_target "amdgcn-amd-amdhsa--gfx906"
	.amdhsa_code_object_version 6
	.protected	fft_rtc_back_len1020_factors_2_17_2_3_5_wgs_204_tpt_68_halfLds_dp_op_CI_CI_unitstride_sbrr_dirReg ; -- Begin function fft_rtc_back_len1020_factors_2_17_2_3_5_wgs_204_tpt_68_halfLds_dp_op_CI_CI_unitstride_sbrr_dirReg
	.globl	fft_rtc_back_len1020_factors_2_17_2_3_5_wgs_204_tpt_68_halfLds_dp_op_CI_CI_unitstride_sbrr_dirReg
	.p2align	8
	.type	fft_rtc_back_len1020_factors_2_17_2_3_5_wgs_204_tpt_68_halfLds_dp_op_CI_CI_unitstride_sbrr_dirReg,@function
fft_rtc_back_len1020_factors_2_17_2_3_5_wgs_204_tpt_68_halfLds_dp_op_CI_CI_unitstride_sbrr_dirReg: ; @fft_rtc_back_len1020_factors_2_17_2_3_5_wgs_204_tpt_68_halfLds_dp_op_CI_CI_unitstride_sbrr_dirReg
; %bb.0:
	s_load_dwordx4 s[8:11], s[4:5], 0x58
	s_load_dwordx4 s[12:15], s[4:5], 0x0
	;; [unrolled: 1-line block ×3, first 2 shown]
	v_mul_u32_u24_e32 v1, 0x3c4, v0
	v_lshrrev_b32_e32 v1, 16, v1
	v_mad_u64_u32 v[4:5], s[0:1], s6, 3, v[1:2]
	v_mov_b32_e32 v1, 0
	v_mov_b32_e32 v6, 0
	;; [unrolled: 1-line block ×3, first 2 shown]
	s_waitcnt lgkmcnt(0)
	v_cmp_lt_u64_e64 s[0:1], s[14:15], 2
	v_mov_b32_e32 v7, 0
	v_mov_b32_e32 v97, v7
	;; [unrolled: 1-line block ×3, first 2 shown]
	s_and_b64 vcc, exec, s[0:1]
	v_mov_b32_e32 v96, v6
	v_mov_b32_e32 v98, v4
	s_cbranch_vccnz .LBB0_8
; %bb.1:
	s_load_dwordx2 s[0:1], s[4:5], 0x10
	s_add_u32 s2, s18, 8
	s_addc_u32 s3, s19, 0
	s_add_u32 s6, s16, 8
	v_mov_b32_e32 v6, 0
	s_addc_u32 s7, s17, 0
	v_mov_b32_e32 v7, 0
	s_waitcnt lgkmcnt(0)
	s_add_u32 s20, s0, 8
	v_mov_b32_e32 v97, v7
	v_mov_b32_e32 v9, v5
	s_addc_u32 s21, s1, 0
	s_mov_b64 s[22:23], 1
	v_mov_b32_e32 v96, v6
	v_mov_b32_e32 v8, v4
.LBB0_2:                                ; =>This Inner Loop Header: Depth=1
	s_load_dwordx2 s[24:25], s[20:21], 0x0
                                        ; implicit-def: $vgpr98_vgpr99
	s_waitcnt lgkmcnt(0)
	v_or_b32_e32 v2, s25, v9
	v_cmp_ne_u64_e32 vcc, 0, v[1:2]
	s_and_saveexec_b64 s[0:1], vcc
	s_xor_b64 s[26:27], exec, s[0:1]
	s_cbranch_execz .LBB0_4
; %bb.3:                                ;   in Loop: Header=BB0_2 Depth=1
	v_cvt_f32_u32_e32 v2, s24
	v_cvt_f32_u32_e32 v3, s25
	s_sub_u32 s0, 0, s24
	s_subb_u32 s1, 0, s25
	v_mac_f32_e32 v2, 0x4f800000, v3
	v_rcp_f32_e32 v2, v2
	v_mul_f32_e32 v2, 0x5f7ffffc, v2
	v_mul_f32_e32 v3, 0x2f800000, v2
	v_trunc_f32_e32 v3, v3
	v_mac_f32_e32 v2, 0xcf800000, v3
	v_cvt_u32_f32_e32 v3, v3
	v_cvt_u32_f32_e32 v2, v2
	v_mul_lo_u32 v5, s0, v3
	v_mul_hi_u32 v10, s0, v2
	v_mul_lo_u32 v12, s1, v2
	v_mul_lo_u32 v11, s0, v2
	v_add_u32_e32 v5, v10, v5
	v_add_u32_e32 v5, v5, v12
	v_mul_hi_u32 v10, v2, v11
	v_mul_lo_u32 v12, v2, v5
	v_mul_hi_u32 v14, v2, v5
	v_mul_hi_u32 v13, v3, v11
	v_mul_lo_u32 v11, v3, v11
	v_mul_hi_u32 v15, v3, v5
	v_add_co_u32_e32 v10, vcc, v10, v12
	v_addc_co_u32_e32 v12, vcc, 0, v14, vcc
	v_mul_lo_u32 v5, v3, v5
	v_add_co_u32_e32 v10, vcc, v10, v11
	v_addc_co_u32_e32 v10, vcc, v12, v13, vcc
	v_addc_co_u32_e32 v11, vcc, 0, v15, vcc
	v_add_co_u32_e32 v5, vcc, v10, v5
	v_addc_co_u32_e32 v10, vcc, 0, v11, vcc
	v_add_co_u32_e32 v2, vcc, v2, v5
	v_addc_co_u32_e32 v3, vcc, v3, v10, vcc
	v_mul_lo_u32 v5, s0, v3
	v_mul_hi_u32 v10, s0, v2
	v_mul_lo_u32 v11, s1, v2
	v_mul_lo_u32 v12, s0, v2
	v_add_u32_e32 v5, v10, v5
	v_add_u32_e32 v5, v5, v11
	v_mul_lo_u32 v13, v2, v5
	v_mul_hi_u32 v14, v2, v12
	v_mul_hi_u32 v15, v2, v5
	;; [unrolled: 1-line block ×3, first 2 shown]
	v_mul_lo_u32 v12, v3, v12
	v_mul_hi_u32 v10, v3, v5
	v_add_co_u32_e32 v13, vcc, v14, v13
	v_addc_co_u32_e32 v14, vcc, 0, v15, vcc
	v_mul_lo_u32 v5, v3, v5
	v_add_co_u32_e32 v12, vcc, v13, v12
	v_addc_co_u32_e32 v11, vcc, v14, v11, vcc
	v_addc_co_u32_e32 v10, vcc, 0, v10, vcc
	v_add_co_u32_e32 v5, vcc, v11, v5
	v_addc_co_u32_e32 v10, vcc, 0, v10, vcc
	v_add_co_u32_e32 v5, vcc, v2, v5
	v_addc_co_u32_e32 v10, vcc, v3, v10, vcc
	v_mad_u64_u32 v[2:3], s[0:1], v8, v10, 0
	v_mul_hi_u32 v11, v8, v5
	v_add_co_u32_e32 v12, vcc, v11, v2
	v_addc_co_u32_e32 v13, vcc, 0, v3, vcc
	v_mad_u64_u32 v[2:3], s[0:1], v9, v5, 0
	v_mad_u64_u32 v[10:11], s[0:1], v9, v10, 0
	v_add_co_u32_e32 v2, vcc, v12, v2
	v_addc_co_u32_e32 v2, vcc, v13, v3, vcc
	v_addc_co_u32_e32 v3, vcc, 0, v11, vcc
	v_add_co_u32_e32 v5, vcc, v2, v10
	v_addc_co_u32_e32 v10, vcc, 0, v3, vcc
	v_mul_lo_u32 v11, s25, v5
	v_mul_lo_u32 v12, s24, v10
	v_mad_u64_u32 v[2:3], s[0:1], s24, v5, 0
	v_add3_u32 v3, v3, v12, v11
	v_sub_u32_e32 v11, v9, v3
	v_mov_b32_e32 v12, s25
	v_sub_co_u32_e32 v2, vcc, v8, v2
	v_subb_co_u32_e64 v11, s[0:1], v11, v12, vcc
	v_subrev_co_u32_e64 v12, s[0:1], s24, v2
	v_subbrev_co_u32_e64 v11, s[0:1], 0, v11, s[0:1]
	v_cmp_le_u32_e64 s[0:1], s25, v11
	v_cndmask_b32_e64 v13, 0, -1, s[0:1]
	v_cmp_le_u32_e64 s[0:1], s24, v12
	v_cndmask_b32_e64 v12, 0, -1, s[0:1]
	v_cmp_eq_u32_e64 s[0:1], s25, v11
	v_cndmask_b32_e64 v11, v13, v12, s[0:1]
	v_add_co_u32_e64 v12, s[0:1], 2, v5
	v_addc_co_u32_e64 v13, s[0:1], 0, v10, s[0:1]
	v_add_co_u32_e64 v14, s[0:1], 1, v5
	v_addc_co_u32_e64 v15, s[0:1], 0, v10, s[0:1]
	v_subb_co_u32_e32 v3, vcc, v9, v3, vcc
	v_cmp_ne_u32_e64 s[0:1], 0, v11
	v_cmp_le_u32_e32 vcc, s25, v3
	v_cndmask_b32_e64 v11, v15, v13, s[0:1]
	v_cndmask_b32_e64 v13, 0, -1, vcc
	v_cmp_le_u32_e32 vcc, s24, v2
	v_cndmask_b32_e64 v2, 0, -1, vcc
	v_cmp_eq_u32_e32 vcc, s25, v3
	v_cndmask_b32_e32 v2, v13, v2, vcc
	v_cmp_ne_u32_e32 vcc, 0, v2
	v_cndmask_b32_e64 v2, v14, v12, s[0:1]
	v_cndmask_b32_e32 v99, v10, v11, vcc
	v_cndmask_b32_e32 v98, v5, v2, vcc
.LBB0_4:                                ;   in Loop: Header=BB0_2 Depth=1
	s_andn2_saveexec_b64 s[0:1], s[26:27]
	s_cbranch_execz .LBB0_6
; %bb.5:                                ;   in Loop: Header=BB0_2 Depth=1
	v_cvt_f32_u32_e32 v2, s24
	s_sub_i32 s26, 0, s24
	v_mov_b32_e32 v99, v1
	v_rcp_iflag_f32_e32 v2, v2
	v_mul_f32_e32 v2, 0x4f7ffffe, v2
	v_cvt_u32_f32_e32 v2, v2
	v_mul_lo_u32 v3, s26, v2
	v_mul_hi_u32 v3, v2, v3
	v_add_u32_e32 v2, v2, v3
	v_mul_hi_u32 v2, v8, v2
	v_mul_lo_u32 v3, v2, s24
	v_add_u32_e32 v5, 1, v2
	v_sub_u32_e32 v3, v8, v3
	v_subrev_u32_e32 v10, s24, v3
	v_cmp_le_u32_e32 vcc, s24, v3
	v_cndmask_b32_e32 v3, v3, v10, vcc
	v_cndmask_b32_e32 v2, v2, v5, vcc
	v_add_u32_e32 v5, 1, v2
	v_cmp_le_u32_e32 vcc, s24, v3
	v_cndmask_b32_e32 v98, v2, v5, vcc
.LBB0_6:                                ;   in Loop: Header=BB0_2 Depth=1
	s_or_b64 exec, exec, s[0:1]
	v_mul_lo_u32 v5, v99, s24
	v_mul_lo_u32 v10, v98, s25
	v_mad_u64_u32 v[2:3], s[0:1], v98, s24, 0
	s_load_dwordx2 s[0:1], s[6:7], 0x0
	s_load_dwordx2 s[24:25], s[2:3], 0x0
	v_add3_u32 v3, v3, v10, v5
	v_sub_co_u32_e32 v2, vcc, v8, v2
	v_subb_co_u32_e32 v3, vcc, v9, v3, vcc
	s_waitcnt lgkmcnt(0)
	v_mul_lo_u32 v5, s0, v3
	v_mul_lo_u32 v8, s1, v2
	v_mad_u64_u32 v[6:7], s[0:1], s0, v2, v[6:7]
	v_mul_lo_u32 v3, s24, v3
	v_mul_lo_u32 v9, s25, v2
	v_mad_u64_u32 v[96:97], s[0:1], s24, v2, v[96:97]
	s_add_u32 s22, s22, 1
	s_addc_u32 s23, s23, 0
	s_add_u32 s2, s2, 8
	v_add3_u32 v97, v9, v97, v3
	s_addc_u32 s3, s3, 0
	v_mov_b32_e32 v2, s14
	s_add_u32 s6, s6, 8
	v_mov_b32_e32 v3, s15
	s_addc_u32 s7, s7, 0
	v_cmp_ge_u64_e32 vcc, s[22:23], v[2:3]
	s_add_u32 s20, s20, 8
	v_add3_u32 v7, v8, v7, v5
	s_addc_u32 s21, s21, 0
	s_cbranch_vccnz .LBB0_8
; %bb.7:                                ;   in Loop: Header=BB0_2 Depth=1
	v_mov_b32_e32 v8, v98
	v_mov_b32_e32 v9, v99
	s_branch .LBB0_2
.LBB0_8:
	s_load_dwordx2 s[2:3], s[4:5], 0x28
	s_lshl_b64 s[6:7], s[14:15], 3
	s_add_u32 s4, s18, s6
	s_addc_u32 s5, s19, s7
                                        ; implicit-def: $vgpr144
	s_waitcnt lgkmcnt(0)
	v_cmp_gt_u64_e64 s[0:1], s[2:3], v[98:99]
	v_cmp_le_u64_e32 vcc, s[2:3], v[98:99]
	s_and_saveexec_b64 s[2:3], vcc
	s_xor_b64 s[2:3], exec, s[2:3]
; %bb.9:
	s_mov_b32 s14, 0x3c3c3c4
	v_mul_hi_u32 v1, v0, s14
                                        ; implicit-def: $vgpr6_vgpr7
	v_mul_u32_u24_e32 v1, 0x44, v1
	v_sub_u32_e32 v144, v0, v1
                                        ; implicit-def: $vgpr0
; %bb.10:
	s_or_saveexec_b64 s[2:3], s[2:3]
	s_load_dwordx2 s[4:5], s[4:5], 0x0
                                        ; implicit-def: $vgpr94_vgpr95
                                        ; implicit-def: $vgpr90_vgpr91
                                        ; implicit-def: $vgpr66_vgpr67
                                        ; implicit-def: $vgpr62_vgpr63
                                        ; implicit-def: $vgpr86_vgpr87
                                        ; implicit-def: $vgpr42_vgpr43
                                        ; implicit-def: $vgpr54_vgpr55
                                        ; implicit-def: $vgpr38_vgpr39
                                        ; implicit-def: $vgpr58_vgpr59
                                        ; implicit-def: $vgpr70_vgpr71
                                        ; implicit-def: $vgpr50_vgpr51
                                        ; implicit-def: $vgpr74_vgpr75
                                        ; implicit-def: $vgpr46_vgpr47
                                        ; implicit-def: $vgpr78_vgpr79
                                        ; implicit-def: $vgpr2_vgpr3
                                        ; implicit-def: $vgpr82_vgpr83
	s_xor_b64 exec, exec, s[2:3]
	s_cbranch_execz .LBB0_14
; %bb.11:
	s_add_u32 s6, s16, s6
	s_addc_u32 s7, s17, s7
	s_load_dwordx2 s[6:7], s[6:7], 0x0
	s_mov_b32 s14, 0x3c3c3c4
	v_mul_hi_u32 v3, v0, s14
                                        ; implicit-def: $vgpr88_vgpr89
                                        ; implicit-def: $vgpr92_vgpr93
	s_waitcnt lgkmcnt(0)
	v_mul_lo_u32 v5, s7, v98
	v_mul_lo_u32 v8, s6, v99
	v_mad_u64_u32 v[1:2], s[6:7], s6, v98, 0
	v_mul_u32_u24_e32 v3, 0x44, v3
	v_sub_u32_e32 v144, v0, v3
	v_add3_u32 v2, v2, v8, v5
	v_lshlrev_b64 v[0:1], 4, v[1:2]
	v_mov_b32_e32 v2, s9
	v_add_co_u32_e32 v3, vcc, s8, v0
	v_addc_co_u32_e32 v2, vcc, v2, v1, vcc
	v_lshlrev_b64 v[0:1], 4, v[6:7]
	s_movk_i32 s6, 0x1000
	v_add_co_u32_e32 v0, vcc, v3, v0
	v_addc_co_u32_e32 v1, vcc, v2, v1, vcc
	v_lshlrev_b32_e32 v2, 4, v144
	v_add_co_u32_e32 v5, vcc, v0, v2
	v_addc_co_u32_e32 v6, vcc, 0, v1, vcc
	v_add_co_u32_e32 v7, vcc, s6, v5
	v_addc_co_u32_e32 v8, vcc, 0, v6, vcc
	s_movk_i32 s6, 0x2000
	v_add_co_u32_e32 v9, vcc, s6, v5
	v_addc_co_u32_e32 v10, vcc, 0, v6, vcc
	s_movk_i32 s6, 0x3000
	v_add_co_u32_e32 v11, vcc, s6, v5
	global_load_dwordx4 v[44:47], v[9:10], off offset:1056
	global_load_dwordx4 v[48:51], v[9:10], off offset:2144
	v_addc_co_u32_e32 v12, vcc, 0, v6, vcc
	global_load_dwordx4 v[56:59], v[9:10], off offset:3232
	global_load_dwordx4 v[52:55], v[11:12], off offset:224
	;; [unrolled: 1-line block ×8, first 2 shown]
	global_load_dwordx4 v[80:83], v[5:6], off
	global_load_dwordx4 v[76:79], v[5:6], off offset:1088
	global_load_dwordx4 v[72:75], v[5:6], off offset:2176
	;; [unrolled: 1-line block ×3, first 2 shown]
	v_cmp_gt_u32_e32 vcc, 34, v144
	s_and_saveexec_b64 s[6:7], vcc
	s_cbranch_execz .LBB0_13
; %bb.12:
	v_add_co_u32_e32 v7, vcc, 0x1000, v5
	v_addc_co_u32_e32 v8, vcc, 0, v6, vcc
	v_add_co_u32_e32 v5, vcc, 0x3000, v5
	v_addc_co_u32_e32 v6, vcc, 0, v6, vcc
	global_load_dwordx4 v[88:91], v[7:8], off offset:3520
	global_load_dwordx4 v[92:95], v[5:6], off offset:3488
.LBB0_13:
	s_or_b64 exec, exec, s[6:7]
.LBB0_14:
	s_or_b64 exec, exec, s[2:3]
	s_mov_b32 s2, 0xaaaaaaab
	v_mul_hi_u32 v5, v4, s2
	s_waitcnt vmcnt(3)
	v_add_f64 v[6:7], v[80:81], -v[0:1]
	s_waitcnt vmcnt(2)
	v_add_f64 v[22:23], v[76:77], -v[44:45]
	;; [unrolled: 2-line block ×4, first 2 shown]
	v_add_f64 v[10:11], v[36:37], -v[52:53]
	v_add_f64 v[14:15], v[40:41], -v[84:85]
	;; [unrolled: 1-line block ×4, first 2 shown]
	v_lshrrev_b32_e32 v0, 1, v5
	v_lshl_add_u32 v0, v0, 1, v0
	v_sub_u32_e32 v0, v4, v0
	v_mul_u32_u24_e32 v0, 0x3fc, v0
	v_fma_f64 v[4:5], v[80:81], 2.0, -v[6:7]
	v_fma_f64 v[20:21], v[76:77], 2.0, -v[22:23]
	;; [unrolled: 1-line block ×8, first 2 shown]
	v_lshlrev_b32_e32 v147, 3, v0
	v_lshlrev_b32_e32 v0, 4, v144
	v_add_u32_e32 v145, 0x44, v144
	v_add3_u32 v68, 0, v0, v147
	v_lshlrev_b32_e32 v0, 4, v145
	v_add_u32_e32 v146, 0x88, v144
	v_add3_u32 v69, 0, v0, v147
	;; [unrolled: 3-line block ×7, first 2 shown]
	v_cmp_gt_u32_e32 vcc, 34, v144
	v_lshlrev_b32_e32 v81, 4, v150
	ds_write_b128 v68, v[4:7]
	ds_write_b128 v69, v[20:23]
	;; [unrolled: 1-line block ×7, first 2 shown]
	s_and_saveexec_b64 s[2:3], vcc
	s_cbranch_execz .LBB0_16
; %bb.15:
	v_add3_u32 v0, 0, v81, v147
	ds_write_b128 v0, v[28:31]
.LBB0_16:
	s_or_b64 exec, exec, s[2:3]
	v_cmp_gt_u32_e64 s[2:3], 60, v144
	v_lshlrev_b32_e32 v154, 3, v144
	s_waitcnt lgkmcnt(0)
	s_barrier
	s_waitcnt lgkmcnt(0)
                                        ; implicit-def: $vgpr36_vgpr37
	s_and_saveexec_b64 s[6:7], s[2:3]
	s_cbranch_execz .LBB0_18
; %bb.17:
	v_add3_u32 v0, 0, v147, v154
	ds_read_b64 v[4:5], v0
	v_add3_u32 v0, 0, v154, v147
	v_add_u32_e32 v1, 0x800, v0
	ds_read2_b64 v[100:103], v0 offset0:60 offset1:120
	ds_read2_b64 v[20:23], v0 offset0:180 offset1:240
	ds_read2_b64 v[16:19], v1 offset0:44 offset1:104
	ds_read2_b64 v[6:9], v1 offset0:164 offset1:224
	v_add_u32_e32 v1, 0x1800, v0
	v_add_u32_e32 v0, 0x1000, v0
	ds_read2_b64 v[34:37], v1 offset0:132 offset1:192
	ds_read2_b64 v[10:13], v1 offset0:12 offset1:72
	;; [unrolled: 1-line block ×4, first 2 shown]
	s_waitcnt lgkmcnt(3)
	v_mov_b32_e32 v30, v34
	s_waitcnt lgkmcnt(1)
	v_mov_b32_e32 v14, v24
	v_mov_b32_e32 v15, v25
	;; [unrolled: 1-line block ×17, first 2 shown]
	s_waitcnt lgkmcnt(0)
	v_mov_b32_e32 v12, v106
	v_mov_b32_e32 v10, v104
	;; [unrolled: 1-line block ×10, first 2 shown]
.LBB0_18:
	s_or_b64 exec, exec, s[6:7]
	v_add_f64 v[2:3], v[82:83], -v[2:3]
	v_add_f64 v[60:61], v[78:79], -v[46:47]
	v_add_f64 v[56:57], v[74:75], -v[50:51]
	v_add_f64 v[52:53], v[70:71], -v[58:59]
	v_add_f64 v[40:41], v[38:39], -v[54:55]
	v_add_f64 v[44:45], v[42:43], -v[86:87]
	v_add_f64 v[48:49], v[62:63], -v[66:67]
	v_add_f64 v[64:65], v[90:91], -v[94:95]
	v_fma_f64 v[0:1], v[82:83], 2.0, -v[2:3]
	v_fma_f64 v[58:59], v[78:79], 2.0, -v[60:61]
	v_fma_f64 v[54:55], v[74:75], 2.0, -v[56:57]
	v_fma_f64 v[50:51], v[70:71], 2.0, -v[52:53]
	v_fma_f64 v[38:39], v[38:39], 2.0, -v[40:41]
	v_fma_f64 v[42:43], v[42:43], 2.0, -v[44:45]
	v_fma_f64 v[46:47], v[62:63], 2.0, -v[48:49]
	v_fma_f64 v[62:63], v[90:91], 2.0, -v[64:65]
	s_barrier
	ds_write_b128 v68, v[0:3]
	ds_write_b128 v69, v[58:61]
	ds_write_b128 v72, v[54:57]
	ds_write_b128 v73, v[50:53]
	ds_write_b128 v76, v[38:41]
	ds_write_b128 v77, v[42:45]
	ds_write_b128 v80, v[46:49]
	s_and_saveexec_b64 s[6:7], vcc
	s_cbranch_execz .LBB0_20
; %bb.19:
	v_add3_u32 v66, 0, v81, v147
	ds_write_b128 v66, v[62:65]
.LBB0_20:
	s_or_b64 exec, exec, s[6:7]
	s_waitcnt lgkmcnt(0)
	s_barrier
	s_waitcnt lgkmcnt(0)
                                        ; implicit-def: $vgpr66_vgpr67
	s_and_saveexec_b64 s[6:7], s[2:3]
	s_cbranch_execz .LBB0_22
; %bb.21:
	v_add3_u32 v2, 0, v154, v147
	v_add3_u32 v0, 0, v147, v154
	v_add_u32_e32 v3, 0x800, v2
	ds_read_b64 v[0:1], v0
	ds_read2_b64 v[68:71], v2 offset0:60 offset1:120
	ds_read2_b64 v[58:61], v2 offset0:180 offset1:240
	;; [unrolled: 1-line block ×4, first 2 shown]
	v_add_u32_e32 v3, 0x1800, v2
	ds_read2_b64 v[64:67], v3 offset0:132 offset1:192
	ds_read2_b64 v[38:41], v3 offset0:12 offset1:72
	v_add_u32_e32 v2, 0x1000, v2
	ds_read2_b64 v[42:45], v2 offset0:148 offset1:208
	ds_read2_b64 v[72:75], v2 offset0:28 offset1:88
	s_waitcnt lgkmcnt(7)
	v_mov_b32_e32 v2, v68
	v_mov_b32_e32 v3, v69
	s_waitcnt lgkmcnt(2)
	v_mov_b32_e32 v49, v39
	v_mov_b32_e32 v48, v38
	;; [unrolled: 1-line block ×9, first 2 shown]
	s_waitcnt lgkmcnt(1)
	v_mov_b32_e32 v47, v45
	v_mov_b32_e32 v56, v54
	;; [unrolled: 1-line block ×10, first 2 shown]
	s_waitcnt lgkmcnt(0)
	v_mov_b32_e32 v42, v74
	v_mov_b32_e32 v40, v72
	;; [unrolled: 1-line block ×7, first 2 shown]
.LBB0_22:
	s_or_b64 exec, exec, s[6:7]
	v_and_b32_e32 v153, 1, v144
	v_lshlrev_b32_e32 v92, 8, v153
	global_load_dwordx4 v[80:83], v92, s[12:13] offset:16
	global_load_dwordx4 v[76:79], v92, s[12:13] offset:32
	;; [unrolled: 1-line block ×9, first 2 shown]
	global_load_dwordx4 v[112:115], v92, s[12:13]
	global_load_dwordx4 v[120:123], v92, s[12:13] offset:144
	global_load_dwordx4 v[116:119], v92, s[12:13] offset:160
	global_load_dwordx4 v[124:127], v92, s[12:13] offset:176
	global_load_dwordx4 v[128:131], v92, s[12:13] offset:192
	global_load_dwordx4 v[132:135], v92, s[12:13] offset:224
	global_load_dwordx4 v[136:139], v92, s[12:13] offset:208
	s_mov_b32 s28, 0x2a9d6da3
	s_mov_b32 s26, 0x7c9e640b
	;; [unrolled: 1-line block ×40, first 2 shown]
	s_waitcnt vmcnt(0)
	s_barrier
	v_mul_f64 v[92:93], v[58:59], v[82:83]
	v_mul_f64 v[94:95], v[60:61], v[78:79]
	;; [unrolled: 1-line block ×20, first 2 shown]
	v_fma_f64 v[70:71], v[60:61], v[76:77], -v[78:79]
	v_fma_f64 v[60:61], v[54:55], v[72:73], -v[142:143]
	;; [unrolled: 1-line block ×4, first 2 shown]
	v_mul_f64 v[155:156], v[56:57], v[90:91]
	v_mul_f64 v[177:178], v[46:47], v[126:127]
	;; [unrolled: 1-line block ×6, first 2 shown]
	v_fma_f64 v[92:93], v[20:21], v[80:81], v[92:93]
	v_fma_f64 v[74:75], v[58:59], v[80:81], -v[82:83]
	v_fma_f64 v[90:91], v[22:23], v[76:77], v[94:95]
	v_fma_f64 v[80:81], v[16:17], v[72:73], v[140:141]
	v_fma_f64 v[58:59], v[56:57], v[88:89], -v[157:158]
	v_fma_f64 v[76:77], v[24:25], v[100:101], v[159:160]
	v_fma_f64 v[56:57], v[50:51], v[100:101], -v[102:103]
	;; [unrolled: 2-line block ×4, first 2 shown]
	v_fma_f64 v[102:103], v[6:7], v[112:113], v[171:172]
	v_add_f64 v[106:107], v[66:67], -v[54:55]
	v_mul_f64 v[126:127], v[32:33], v[126:127]
	v_mul_f64 v[138:139], v[62:63], v[138:139]
	v_fma_f64 v[78:79], v[18:19], v[88:89], v[155:156]
	v_fma_f64 v[52:53], v[32:33], v[124:125], v[177:178]
	v_fma_f64 v[32:33], v[62:63], v[136:137], -v[130:131]
	v_fma_f64 v[94:95], v[30:31], v[132:133], v[134:135]
	v_add_f64 v[88:89], v[74:75], -v[26:27]
	v_add_f64 v[20:21], v[102:103], v[100:101]
	v_mul_f64 v[24:25], v[106:107], s[28:29]
	v_mul_f64 v[130:131], v[106:107], s[26:27]
	v_fma_f64 v[62:63], v[34:35], v[128:129], v[179:180]
	v_fma_f64 v[64:65], v[28:29], v[136:137], v[138:139]
	v_fma_f64 v[28:29], v[48:49], v[128:129], -v[183:184]
	v_add_f64 v[86:87], v[70:71], -v[32:33]
	v_add_f64 v[16:17], v[92:93], v[94:95]
	v_mul_f64 v[110:111], v[88:89], s[24:25]
	v_mul_f64 v[128:129], v[88:89], s[18:19]
	v_fma_f64 v[6:7], v[20:21], s[22:23], -v[24:25]
	v_fma_f64 v[18:19], v[20:21], s[20:21], -v[130:131]
	v_mul_f64 v[175:176], v[44:45], v[118:119]
	v_mul_f64 v[118:119], v[14:15], v[118:119]
	v_fma_f64 v[36:37], v[46:47], v[124:125], -v[126:127]
	v_add_f64 v[2:3], v[90:91], v[64:65]
	v_add_f64 v[22:23], v[60:61], -v[28:29]
	v_mul_f64 v[104:105], v[86:87], s[18:19]
	v_mul_f64 v[126:127], v[86:87], s[14:15]
	v_fma_f64 v[30:31], v[16:17], s[16:17], -v[110:111]
	v_fma_f64 v[34:35], v[16:17], s[8:9], -v[128:129]
	v_add_f64 v[46:47], v[4:5], v[6:7]
	v_add_f64 v[18:19], v[4:5], v[18:19]
	s_mov_b32 s15, 0xbfc7851a
	v_mul_f64 v[173:174], v[42:43], v[122:123]
	v_mul_f64 v[122:123], v[12:13], v[122:123]
	v_add_f64 v[6:7], v[80:81], v[62:63]
	v_mul_f64 v[124:125], v[22:23], s[36:37]
	v_mul_f64 v[108:109], v[22:23], s[14:15]
	v_fma_f64 v[48:49], v[2:3], s[8:9], -v[104:105]
	v_fma_f64 v[82:83], v[2:3], s[6:7], -v[126:127]
	v_add_f64 v[46:47], v[30:31], v[46:47]
	v_add_f64 v[34:35], v[34:35], v[18:19]
	v_add_f64 v[112:113], v[58:59], -v[36:37]
	v_fma_f64 v[30:31], v[44:45], v[116:117], -v[118:119]
	v_add_f64 v[18:19], v[78:79], v[52:53]
	v_fma_f64 v[118:119], v[6:7], s[30:31], -v[124:125]
	v_fma_f64 v[134:135], v[6:7], s[6:7], -v[108:109]
	v_fma_f64 v[44:45], v[14:15], v[116:117], v[175:176]
	v_add_f64 v[46:47], v[48:49], v[46:47]
	v_add_f64 v[48:49], v[82:83], v[34:35]
	v_mul_f64 v[114:115], v[112:113], s[52:53]
	v_mul_f64 v[132:133], v[112:113], s[38:39]
	v_add_f64 v[116:117], v[56:57], -v[30:31]
	v_fma_f64 v[34:35], v[42:43], v[120:121], -v[122:123]
	v_fma_f64 v[38:39], v[38:39], v[68:69], -v[165:166]
	;; [unrolled: 1-line block ×3, first 2 shown]
	v_add_f64 v[46:47], v[134:135], v[46:47]
	v_add_f64 v[48:49], v[118:119], v[48:49]
	v_fma_f64 v[82:83], v[18:19], s[34:35], -v[114:115]
	v_fma_f64 v[122:123], v[18:19], s[22:23], -v[132:133]
	v_add_f64 v[14:15], v[76:77], v[44:45]
	v_mul_f64 v[118:119], v[116:117], s[36:37]
	v_mul_f64 v[134:135], v[116:117], s[42:43]
	v_fma_f64 v[42:43], v[12:13], v[120:121], v[173:174]
	v_add_f64 v[120:121], v[50:51], -v[34:35]
	v_lshrrev_b32_e32 v155, 1, v144
	v_add_f64 v[82:83], v[82:83], v[46:47]
	v_add_f64 v[138:139], v[122:123], v[48:49]
	v_fma_f64 v[46:47], v[8:9], v[68:69], v[163:164]
	v_fma_f64 v[140:141], v[14:15], s[30:31], -v[118:119]
	v_fma_f64 v[142:143], v[14:15], s[46:47], -v[134:135]
	v_add_f64 v[12:13], v[72:73], v[42:43]
	v_mul_f64 v[122:123], v[120:121], s[58:59]
	v_mul_f64 v[136:137], v[120:121], s[24:25]
	v_fma_f64 v[48:49], v[10:11], v[84:85], v[167:168]
	v_add_f64 v[10:11], v[38:39], -v[40:41]
	v_add_f64 v[82:83], v[140:141], v[82:83]
	v_add_f64 v[84:85], v[142:143], v[138:139]
	v_fma_f64 v[138:139], v[12:13], s[20:21], -v[122:123]
	v_fma_f64 v[140:141], v[12:13], s[16:17], -v[136:137]
	v_add_f64 v[8:9], v[46:47], v[48:49]
	v_mul_f64 v[68:69], v[10:11], s[50:51]
	v_mul_f64 v[142:143], v[10:11], s[44:45]
	v_add_f64 v[82:83], v[138:139], v[82:83]
	v_add_f64 v[84:85], v[140:141], v[84:85]
	v_fma_f64 v[138:139], v[8:9], s[46:47], -v[68:69]
	v_fma_f64 v[140:141], v[8:9], s[34:35], -v[142:143]
	v_add_f64 v[82:83], v[138:139], v[82:83]
	v_add_f64 v[84:85], v[140:141], v[84:85]
	s_and_saveexec_b64 s[40:41], s[2:3]
	s_cbranch_execz .LBB0_24
; %bb.23:
	v_mul_f64 v[178:179], v[106:107], s[14:15]
	v_mul_f64 v[192:193], v[88:89], s[50:51]
	;; [unrolled: 1-line block ×6, first 2 shown]
	s_mov_b32 s55, 0x3fe9895b
	s_mov_b32 s54, s18
	v_fma_f64 v[194:195], v[20:21], s[6:7], -v[178:179]
	v_fma_f64 v[178:179], v[20:21], s[6:7], v[178:179]
	v_fma_f64 v[206:207], v[16:17], s[46:47], -v[192:193]
	v_fma_f64 v[212:213], v[20:21], s[34:35], -v[200:201]
	v_fma_f64 v[192:193], v[16:17], s[46:47], v[192:193]
	v_fma_f64 v[216:217], v[2:3], s[34:35], -v[204:205]
	v_fma_f64 v[218:219], v[16:17], s[20:21], -v[210:211]
	v_fma_f64 v[204:205], v[2:3], s[34:35], v[204:205]
	v_add_f64 v[194:195], v[4:5], v[194:195]
	v_add_f64 v[178:179], v[4:5], v[178:179]
	v_mul_f64 v[196:197], v[112:113], s[18:19]
	v_add_f64 v[212:213], v[4:5], v[212:213]
	v_fma_f64 v[214:215], v[6:7], s[22:23], -v[202:203]
	v_fma_f64 v[202:203], v[6:7], s[22:23], v[202:203]
	v_fma_f64 v[210:211], v[16:17], s[20:21], v[210:211]
	v_mul_f64 v[182:183], v[116:117], s[58:59]
	v_add_f64 v[194:195], v[206:207], v[194:195]
	v_mul_f64 v[206:207], v[86:87], s[24:25]
	v_add_f64 v[178:179], v[192:193], v[178:179]
	v_fma_f64 v[192:193], v[20:21], s[34:35], v[200:201]
	v_mul_f64 v[200:201], v[22:23], s[54:55]
	v_add_f64 v[212:213], v[218:219], v[212:213]
	v_fma_f64 v[208:209], v[18:19], s[8:9], -v[196:197]
	v_fma_f64 v[196:197], v[18:19], s[8:9], v[196:197]
	v_add_f64 v[194:195], v[216:217], v[194:195]
	v_fma_f64 v[220:221], v[2:3], s[16:17], -v[206:207]
	v_add_f64 v[178:179], v[204:205], v[178:179]
	v_add_f64 v[192:193], v[4:5], v[192:193]
	v_mul_f64 v[204:205], v[112:113], s[42:43]
	v_fma_f64 v[216:217], v[6:7], s[8:9], -v[200:201]
	v_fma_f64 v[206:207], v[2:3], s[16:17], v[206:207]
	s_mov_b32 s49, 0xbfeec746
	v_add_f64 v[194:195], v[214:215], v[194:195]
	v_add_f64 v[212:213], v[220:221], v[212:213]
	;; [unrolled: 1-line block ×4, first 2 shown]
	s_mov_b32 s48, s36
	v_mul_f64 v[174:175], v[120:121], s[48:49]
	v_fma_f64 v[198:199], v[14:15], s[20:21], -v[182:183]
	v_mul_f64 v[202:203], v[116:117], s[14:15]
	v_fma_f64 v[210:211], v[18:19], s[46:47], -v[204:205]
	v_add_f64 v[212:213], v[216:217], v[212:213]
	v_add_f64 v[194:195], v[208:209], v[194:195]
	v_fma_f64 v[182:183], v[14:15], s[20:21], v[182:183]
	v_fma_f64 v[200:201], v[6:7], s[8:9], v[200:201]
	v_add_f64 v[192:193], v[206:207], v[192:193]
	v_add_f64 v[178:179], v[196:197], v[178:179]
	s_mov_b32 s57, 0x3fefdd0d
	s_mov_b32 s56, s24
	v_mul_f64 v[172:173], v[10:11], s[56:57]
	v_fma_f64 v[190:191], v[12:13], s[30:31], -v[174:175]
	v_mul_f64 v[196:197], v[120:121], s[38:39]
	v_fma_f64 v[206:207], v[14:15], s[6:7], -v[202:203]
	v_add_f64 v[208:209], v[210:211], v[212:213]
	v_add_f64 v[194:195], v[198:199], v[194:195]
	v_fma_f64 v[174:175], v[12:13], s[30:31], v[174:175]
	v_fma_f64 v[198:199], v[18:19], s[46:47], v[204:205]
	v_add_f64 v[192:193], v[200:201], v[192:193]
	v_add_f64 v[178:179], v[182:183], v[178:179]
	v_fma_f64 v[188:189], v[8:9], s[16:17], -v[172:173]
	v_mul_f64 v[182:183], v[10:11], s[48:49]
	v_fma_f64 v[200:201], v[12:13], s[22:23], -v[196:197]
	v_add_f64 v[204:205], v[206:207], v[208:209]
	v_add_f64 v[190:191], v[190:191], v[194:195]
	v_fma_f64 v[172:173], v[8:9], s[16:17], v[172:173]
	v_fma_f64 v[194:195], v[14:15], s[6:7], v[202:203]
	v_add_f64 v[192:193], v[198:199], v[192:193]
	v_add_f64 v[174:175], v[174:175], v[178:179]
	v_fma_f64 v[198:199], v[8:9], s[30:31], -v[182:183]
	v_mul_f64 v[210:211], v[86:87], s[42:43]
	v_add_f64 v[200:201], v[200:201], v[204:205]
	v_add_f64 v[188:189], v[188:189], v[190:191]
	v_fma_f64 v[190:191], v[12:13], s[22:23], v[196:197]
	v_mul_f64 v[214:215], v[88:89], s[52:53]
	v_add_f64 v[192:193], v[194:195], v[192:193]
	v_add_f64 v[172:173], v[172:173], v[174:175]
	v_mul_f64 v[174:175], v[106:107], s[18:19]
	v_mul_f64 v[218:219], v[22:23], s[44:45]
	v_add_f64 v[196:197], v[198:199], v[200:201]
	v_mul_f64 v[200:201], v[88:89], s[36:37]
	v_fma_f64 v[220:221], v[2:3], s[46:47], -v[210:211]
	v_mul_f64 v[222:223], v[86:87], s[38:39]
	v_add_f64 v[190:191], v[190:191], v[192:193]
	v_mul_f64 v[192:193], v[106:107], s[48:49]
	v_fma_f64 v[204:205], v[20:21], s[8:9], -v[174:175]
	v_fma_f64 v[174:175], v[20:21], s[8:9], v[174:175]
	v_fma_f64 v[224:225], v[16:17], s[34:35], -v[214:215]
	v_fma_f64 v[212:213], v[16:17], s[30:31], -v[200:201]
	v_fma_f64 v[200:201], v[16:17], s[30:31], v[200:201]
	v_fma_f64 v[210:211], v[2:3], s[46:47], v[210:211]
	v_mul_f64 v[226:227], v[22:23], s[26:27]
	v_fma_f64 v[216:217], v[20:21], s[30:31], -v[192:193]
	v_add_f64 v[204:205], v[4:5], v[204:205]
	v_add_f64 v[174:175], v[4:5], v[174:175]
	v_fma_f64 v[228:229], v[2:3], s[22:23], -v[222:223]
	v_fma_f64 v[192:193], v[20:21], s[30:31], v[192:193]
	v_mul_f64 v[198:199], v[120:121], s[14:15]
	v_fma_f64 v[214:215], v[16:17], s[34:35], v[214:215]
	v_fma_f64 v[230:231], v[6:7], s[20:21], -v[226:227]
	v_add_f64 v[216:217], v[4:5], v[216:217]
	v_add_f64 v[204:205], v[212:213], v[204:205]
	;; [unrolled: 1-line block ×3, first 2 shown]
	v_mul_f64 v[200:201], v[112:113], s[56:57]
	v_fma_f64 v[212:213], v[6:7], s[34:35], -v[218:219]
	v_fma_f64 v[218:219], v[6:7], s[34:35], v[218:219]
	v_add_f64 v[192:193], v[4:5], v[192:193]
	v_mul_f64 v[194:195], v[10:11], s[58:59]
	v_add_f64 v[216:217], v[224:225], v[216:217]
	v_add_f64 v[204:205], v[220:221], v[204:205]
	v_add_f64 v[174:175], v[210:211], v[174:175]
	v_mul_f64 v[210:211], v[116:117], s[28:29]
	v_fma_f64 v[220:221], v[18:19], s[16:17], -v[200:201]
	v_mul_f64 v[224:225], v[112:113], s[14:15]
	v_fma_f64 v[200:201], v[18:19], s[16:17], v[200:201]
	v_fma_f64 v[208:209], v[12:13], s[6:7], -v[198:199]
	v_add_f64 v[216:217], v[228:229], v[216:217]
	v_add_f64 v[204:205], v[212:213], v[204:205]
	;; [unrolled: 1-line block ×3, first 2 shown]
	v_fma_f64 v[212:213], v[14:15], s[22:23], -v[210:211]
	v_mul_f64 v[218:219], v[116:117], s[56:57]
	v_fma_f64 v[228:229], v[18:19], s[6:7], -v[224:225]
	v_fma_f64 v[210:211], v[14:15], s[22:23], v[210:211]
	v_fma_f64 v[198:199], v[12:13], s[6:7], v[198:199]
	v_add_f64 v[216:217], v[230:231], v[216:217]
	v_add_f64 v[204:205], v[220:221], v[204:205]
	;; [unrolled: 1-line block ×3, first 2 shown]
	v_mul_f64 v[200:201], v[120:121], s[42:43]
	v_fma_f64 v[220:221], v[14:15], s[16:17], -v[218:219]
	v_fma_f64 v[222:223], v[2:3], s[22:23], v[222:223]
	v_add_f64 v[192:193], v[214:215], v[192:193]
	v_fma_f64 v[182:183], v[8:9], s[30:31], v[182:183]
	v_add_f64 v[216:217], v[228:229], v[216:217]
	v_add_f64 v[204:205], v[212:213], v[204:205]
	;; [unrolled: 1-line block ×3, first 2 shown]
	v_fma_f64 v[206:207], v[8:9], s[20:21], -v[194:195]
	v_mul_f64 v[210:211], v[10:11], s[18:19]
	v_fma_f64 v[212:213], v[12:13], s[46:47], -v[200:201]
	v_fma_f64 v[194:195], v[8:9], s[20:21], v[194:195]
	v_add_f64 v[192:193], v[222:223], v[192:193]
	v_add_f64 v[214:215], v[220:221], v[216:217]
	;; [unrolled: 1-line block ×4, first 2 shown]
	v_fma_f64 v[208:209], v[6:7], s[20:21], v[226:227]
	v_mul_f64 v[216:217], v[106:107], s[24:25]
	v_fma_f64 v[198:199], v[8:9], s[8:9], -v[210:211]
	v_add_f64 v[182:183], v[182:183], v[190:191]
	v_mul_f64 v[158:159], v[20:21], s[20:21]
	v_add_f64 v[212:213], v[212:213], v[214:215]
	v_add_f64 v[190:191], v[206:207], v[204:205]
	;; [unrolled: 1-line block ×3, first 2 shown]
	v_fma_f64 v[194:195], v[18:19], s[6:7], v[224:225]
	v_mul_f64 v[204:205], v[88:89], s[14:15]
	v_fma_f64 v[206:207], v[20:21], s[16:17], -v[216:217]
	v_add_f64 v[192:193], v[208:209], v[192:193]
	v_fma_f64 v[214:215], v[20:21], s[16:17], v[216:217]
	v_add_f64 v[198:199], v[198:199], v[212:213]
	v_mul_f64 v[212:213], v[86:87], s[36:37]
	v_fma_f64 v[208:209], v[8:9], s[8:9], v[210:211]
	v_fma_f64 v[210:211], v[14:15], s[16:17], v[218:219]
	v_fma_f64 v[216:217], v[16:17], s[6:7], -v[204:205]
	v_add_f64 v[206:207], v[4:5], v[206:207]
	v_add_f64 v[192:193], v[194:195], v[192:193]
	v_fma_f64 v[194:195], v[12:13], s[46:47], v[200:201]
	v_add_f64 v[200:201], v[4:5], v[102:103]
	v_mul_f64 v[218:219], v[22:23], s[50:51]
	v_fma_f64 v[204:205], v[16:17], s[6:7], v[204:205]
	v_add_f64 v[214:215], v[4:5], v[214:215]
	v_fma_f64 v[220:221], v[2:3], s[30:31], -v[212:213]
	v_add_f64 v[206:207], v[216:217], v[206:207]
	v_mul_f64 v[162:163], v[16:17], s[8:9]
	v_add_f64 v[192:193], v[210:211], v[192:193]
	v_add_f64 v[200:201], v[200:201], v[92:93]
	v_mul_f64 v[210:211], v[112:113], s[26:27]
	v_fma_f64 v[212:213], v[2:3], s[30:31], v[212:213]
	v_add_f64 v[130:131], v[158:159], v[130:131]
	v_add_f64 v[158:159], v[204:205], v[214:215]
	v_fma_f64 v[204:205], v[6:7], s[46:47], -v[218:219]
	v_add_f64 v[206:207], v[220:221], v[206:207]
	v_mul_f64 v[166:167], v[2:3], s[6:7]
	v_add_f64 v[200:201], v[200:201], v[90:91]
	v_mul_f64 v[214:215], v[116:117], s[44:45]
	v_fma_f64 v[216:217], v[6:7], s[46:47], v[218:219]
	v_add_f64 v[128:129], v[162:163], v[128:129]
	v_add_f64 v[130:131], v[4:5], v[130:131]
	;; [unrolled: 1-line block ×3, first 2 shown]
	v_fma_f64 v[162:163], v[18:19], s[20:21], -v[210:211]
	v_add_f64 v[204:205], v[204:205], v[206:207]
	v_add_f64 v[200:201], v[200:201], v[80:81]
	v_mul_f64 v[168:169], v[6:7], s[30:31]
	v_mul_f64 v[206:207], v[120:121], s[54:55]
	v_fma_f64 v[210:211], v[18:19], s[20:21], v[210:211]
	v_add_f64 v[126:127], v[166:167], v[126:127]
	v_add_f64 v[128:129], v[128:129], v[130:131]
	;; [unrolled: 1-line block ×3, first 2 shown]
	v_fma_f64 v[158:159], v[14:15], s[34:35], -v[214:215]
	v_add_f64 v[162:163], v[162:163], v[204:205]
	v_add_f64 v[200:201], v[200:201], v[78:79]
	v_mul_f64 v[170:171], v[18:19], s[22:23]
	v_mul_f64 v[166:167], v[10:11], s[38:39]
	v_fma_f64 v[204:205], v[14:15], s[34:35], v[214:215]
	v_add_f64 v[124:125], v[168:169], v[124:125]
	v_add_f64 v[126:127], v[126:127], v[128:129]
	;; [unrolled: 1-line block ×3, first 2 shown]
	v_fma_f64 v[130:131], v[12:13], s[8:9], -v[206:207]
	v_add_f64 v[158:159], v[158:159], v[162:163]
	v_add_f64 v[162:163], v[194:195], v[192:193]
	;; [unrolled: 1-line block ×3, first 2 shown]
	v_mul_f64 v[180:181], v[14:15], s[46:47]
	v_mul_f64 v[202:203], v[8:9], s[34:35]
	v_add_f64 v[132:133], v[170:171], v[132:133]
	v_add_f64 v[124:125], v[124:125], v[126:127]
	;; [unrolled: 1-line block ×3, first 2 shown]
	v_fma_f64 v[128:129], v[8:9], s[22:23], -v[166:167]
	v_add_f64 v[130:131], v[130:131], v[158:159]
	v_fma_f64 v[158:159], v[8:9], s[22:23], v[166:167]
	v_mul_f64 v[106:107], v[106:107], s[42:43]
	v_add_f64 v[166:167], v[192:193], v[72:73]
	v_mul_f64 v[156:157], v[20:21], s[22:23]
	v_mul_f64 v[160:161], v[16:17], s[16:17]
	v_add_f64 v[134:135], v[180:181], v[134:135]
	v_add_f64 v[124:125], v[132:133], v[124:125]
	;; [unrolled: 1-line block ×3, first 2 shown]
	v_mul_f64 v[88:89], v[88:89], s[28:29]
	v_fma_f64 v[142:143], v[20:21], s[46:47], v[106:107]
	v_add_f64 v[166:167], v[166:167], v[46:47]
	v_add_f64 v[24:25], v[156:157], v[24:25]
	v_fma_f64 v[20:21], v[20:21], s[46:47], -v[106:107]
	v_mul_f64 v[164:165], v[2:3], s[8:9]
	v_add_f64 v[124:125], v[134:135], v[124:125]
	v_add_f64 v[106:107], v[160:161], v[110:111]
	v_mul_f64 v[86:87], v[86:87], s[26:27]
	v_fma_f64 v[110:111], v[16:17], s[22:23], v[88:89]
	v_add_f64 v[134:135], v[4:5], v[142:143]
	v_add_f64 v[142:143], v[166:167], v[48:49]
	;; [unrolled: 1-line block ×3, first 2 shown]
	v_fma_f64 v[16:17], v[16:17], s[22:23], -v[88:89]
	v_add_f64 v[4:5], v[4:5], v[20:21]
	v_add_f64 v[20:21], v[164:165], v[104:105]
	v_mul_f64 v[22:23], v[22:23], s[24:25]
	v_fma_f64 v[88:89], v[2:3], s[20:21], v[86:87]
	v_add_f64 v[104:105], v[110:111], v[134:135]
	v_add_f64 v[110:111], v[142:143], v[42:43]
	v_mul_f64 v[140:141], v[6:7], s[6:7]
	v_add_f64 v[24:25], v[106:107], v[24:25]
	v_fma_f64 v[2:3], v[2:3], s[20:21], -v[86:87]
	v_add_f64 v[4:5], v[16:17], v[4:5]
	v_mul_f64 v[86:87], v[112:113], s[48:49]
	v_fma_f64 v[106:107], v[6:7], s[16:17], v[22:23]
	v_add_f64 v[88:89], v[88:89], v[104:105]
	v_add_f64 v[104:105], v[110:111], v[44:45]
	v_mul_f64 v[138:139], v[18:19], s[34:35]
	v_add_f64 v[16:17], v[140:141], v[108:109]
	v_add_f64 v[20:21], v[20:21], v[24:25]
	v_fma_f64 v[6:7], v[6:7], s[16:17], -v[22:23]
	v_add_f64 v[2:3], v[2:3], v[4:5]
	v_mul_f64 v[22:23], v[116:117], s[18:19]
	v_fma_f64 v[24:25], v[18:19], s[30:31], v[86:87]
	v_add_f64 v[88:89], v[106:107], v[88:89]
	v_add_f64 v[104:105], v[104:105], v[52:53]
	v_mul_f64 v[176:177], v[14:15], s[30:31]
	v_add_f64 v[4:5], v[138:139], v[114:115]
	v_add_f64 v[16:17], v[16:17], v[20:21]
	v_fma_f64 v[18:19], v[18:19], s[30:31], -v[86:87]
	v_add_f64 v[2:3], v[6:7], v[2:3]
	v_mul_f64 v[20:21], v[120:121], s[44:45]
	v_fma_f64 v[86:87], v[14:15], s[8:9], v[22:23]
	v_add_f64 v[24:25], v[24:25], v[88:89]
	v_add_f64 v[88:89], v[104:105], v[62:63]
	v_mul_f64 v[184:185], v[12:13], s[20:21]
	v_mul_f64 v[186:187], v[12:13], s[16:17]
	v_add_f64 v[6:7], v[176:177], v[118:119]
	v_add_f64 v[4:5], v[4:5], v[16:17]
	v_fma_f64 v[14:15], v[14:15], s[8:9], -v[22:23]
	v_add_f64 v[2:3], v[18:19], v[2:3]
	v_mul_f64 v[10:11], v[10:11], s[14:15]
	v_fma_f64 v[18:19], v[12:13], s[34:35], v[20:21]
	v_add_f64 v[22:23], v[86:87], v[24:25]
	v_add_f64 v[24:25], v[88:89], v[64:65]
	v_mul_f64 v[178:179], v[8:9], s[46:47]
	v_add_f64 v[136:137], v[186:187], v[136:137]
	v_add_f64 v[16:17], v[184:185], v[122:123]
	;; [unrolled: 1-line block ×3, first 2 shown]
	v_fma_f64 v[168:169], v[12:13], s[8:9], v[206:207]
	v_fma_f64 v[6:7], v[12:13], s[34:35], -v[20:21]
	v_add_f64 v[2:3], v[14:15], v[2:3]
	v_fma_f64 v[20:21], v[8:9], s[6:7], v[10:11]
	v_add_f64 v[18:19], v[18:19], v[22:23]
	v_add_f64 v[22:23], v[24:25], v[94:95]
	;; [unrolled: 1-line block ×6, first 2 shown]
	v_fma_f64 v[8:9], v[8:9], s[6:7], -v[10:11]
	v_add_f64 v[2:3], v[6:7], v[2:3]
	v_add_f64 v[16:17], v[20:21], v[18:19]
	;; [unrolled: 1-line block ×9, first 2 shown]
	v_mul_u32_u24_e32 v8, 34, v155
	v_or_b32_e32 v8, v8, v153
	v_lshlrev_b32_e32 v8, 3, v8
	v_add3_u32 v8, 0, v8, v147
	ds_write2_b64 v8, v[18:19], v[16:17] offset1:2
	ds_write2_b64 v8, v[4:5], v[12:13] offset0:4 offset1:6
	ds_write2_b64 v8, v[14:15], v[6:7] offset0:8 offset1:10
	;; [unrolled: 1-line block ×7, first 2 shown]
	ds_write_b64 v8, v[2:3] offset:256
.LBB0_24:
	s_or_b64 exec, exec, s[40:41]
	v_add3_u32 v139, 0, v154, v147
	v_add_u32_e32 v2, 0xc00, v139
	v_add_u32_e32 v6, 0x400, v139
	s_waitcnt lgkmcnt(0)
	s_barrier
	ds_read2_b64 v[10:13], v2 offset0:126 offset1:194
	ds_read2_b64 v[14:17], v139 offset0:68 offset1:136
	v_add_u32_e32 v2, 0x1000, v139
	ds_read2_b64 v[18:21], v6 offset0:76 offset1:144
	v_add_u32_e32 v6, 0x1800, v139
	v_add_u32_e32 v22, 0x800, v139
	v_add3_u32 v138, 0, v147, v154
	ds_read2_b64 v[2:5], v2 offset0:134 offset1:202
	ds_read2_b64 v[6:9], v6 offset0:14 offset1:82
	;; [unrolled: 1-line block ×3, first 2 shown]
	ds_read_b64 v[88:89], v138
	ds_read_b64 v[86:87], v139 offset:7344
	s_and_saveexec_b64 s[6:7], vcc
	s_cbranch_execz .LBB0_26
; %bb.25:
	ds_read_b64 v[84:85], v139 offset:3808
	ds_read_b64 v[82:83], v139 offset:7888
.LBB0_26:
	s_or_b64 exec, exec, s[6:7]
	v_add_f64 v[136:137], v[66:67], v[54:55]
	s_mov_b32 s14, 0x75d4884
	s_mov_b32 s6, 0x2b2883cd
	;; [unrolled: 1-line block ×4, first 2 shown]
	v_add_f64 v[118:119], v[102:103], -v[100:101]
	v_add_f64 v[134:135], v[74:75], v[26:27]
	s_mov_b32 s18, 0x2a9d6da3
	v_mul_f64 v[122:123], v[136:137], s[14:15]
	v_mul_f64 v[124:125], v[136:137], s[6:7]
	s_mov_b32 s8, 0x7c9e640b
	s_mov_b32 s22, 0x6ed5f1bb
	;; [unrolled: 1-line block ×5, first 2 shown]
	v_add_f64 v[120:121], v[92:93], -v[94:95]
	v_fma_f64 v[68:69], v[118:119], s[18:19], v[122:123]
	v_fma_f64 v[92:93], v[118:119], s[8:9], v[124:125]
	v_mul_f64 v[126:127], v[134:135], s[16:17]
	v_add_f64 v[112:113], v[70:71], v[32:33]
	v_mul_f64 v[130:131], v[134:135], s[22:23]
	s_mov_b32 s20, 0xeb564b22
	s_mov_b32 s24, 0x6c9a05f6
	;; [unrolled: 1-line block ×6, first 2 shown]
	v_add_f64 v[68:69], v[0:1], v[68:69]
	v_add_f64 v[92:93], v[0:1], v[92:93]
	v_fma_f64 v[94:95], v[120:121], s[20:21], v[126:127]
	v_add_f64 v[110:111], v[90:91], -v[64:65]
	v_mul_f64 v[128:129], v[112:113], s[22:23]
	v_fma_f64 v[64:65], v[120:121], s[24:25], v[130:131]
	v_mul_f64 v[132:133], v[112:113], s[30:31]
	v_add_f64 v[104:105], v[60:61], v[28:29]
	s_mov_b32 s34, 0xacd6c6b4
	s_mov_b32 s35, 0x3fc7851a
	v_add_f64 v[68:69], v[94:95], v[68:69]
	v_add_f64 v[102:103], v[80:81], -v[62:63]
	v_fma_f64 v[90:91], v[110:111], s[24:25], v[128:129]
	v_add_f64 v[64:65], v[64:65], v[92:93]
	v_fma_f64 v[92:93], v[110:111], s[34:35], v[132:133]
	v_mul_f64 v[114:115], v[104:105], s[30:31]
	s_mov_b32 s26, 0xc61f0d01
	s_mov_b32 s27, 0xbfd183b1
	;; [unrolled: 1-line block ×4, first 2 shown]
	v_add_f64 v[68:69], v[90:91], v[68:69]
	v_mul_f64 v[116:117], v[104:105], s[26:27]
	v_add_f64 v[62:63], v[92:93], v[64:65]
	v_add_f64 v[80:81], v[58:59], v[36:37]
	v_fma_f64 v[64:65], v[102:103], s[36:37], v[114:115]
	s_mov_b32 s28, 0x923c349f
	s_mov_b32 s44, 0x910ea3b9
	s_mov_b32 s29, 0x3feec746
	s_mov_b32 s45, 0xbfeb34fa
	v_fma_f64 v[90:91], v[102:103], s[28:29], v[116:117]
	v_add_f64 v[78:79], v[78:79], -v[52:53]
	v_mul_f64 v[106:107], v[80:81], s[44:45]
	v_add_f64 v[52:53], v[64:65], v[68:69]
	v_mul_f64 v[108:109], v[80:81], s[14:15]
	v_add_f64 v[68:69], v[56:57], v[30:31]
	s_mov_b32 s50, 0x4363dd80
	s_mov_b32 s51, 0x3fe0d888
	;; [unrolled: 1-line block ×3, first 2 shown]
	v_add_f64 v[90:91], v[90:91], v[62:63]
	v_fma_f64 v[62:63], v[78:79], s[50:51], v[106:107]
	v_add_f64 v[64:65], v[76:77], -v[44:45]
	v_fma_f64 v[92:93], v[78:79], s[38:39], v[108:109]
	v_mul_f64 v[94:95], v[68:69], s[26:27]
	s_mov_b32 s48, 0x370991
	s_mov_b32 s49, 0x3fedd6d0
	v_mul_f64 v[100:101], v[68:69], s[48:49]
	s_mov_b32 s46, 0x5d8e7cdc
	v_add_f64 v[44:45], v[62:63], v[52:53]
	v_add_f64 v[62:63], v[50:51], v[34:35]
	v_add_f64 v[90:91], v[92:93], v[90:91]
	v_fma_f64 v[92:93], v[64:65], s[28:29], v[94:95]
	s_mov_b32 s47, 0xbfd71e95
	v_add_f64 v[52:53], v[72:73], -v[42:43]
	v_fma_f64 v[140:141], v[64:65], s[46:47], v[100:101]
	s_mov_b32 s43, 0x3feca52d
	s_mov_b32 s42, s8
	v_mul_f64 v[72:73], v[62:63], s[6:7]
	v_mul_f64 v[76:77], v[62:63], s[16:17]
	v_add_f64 v[92:93], v[92:93], v[44:45]
	v_add_f64 v[44:45], v[38:39], v[40:41]
	v_add_f64 v[42:43], v[46:47], -v[48:49]
	v_add_f64 v[90:91], v[140:141], v[90:91]
	s_mov_b32 s53, 0x3fd71e95
	s_mov_b32 s52, s46
	v_fma_f64 v[140:141], v[52:53], s[42:43], v[72:73]
	v_fma_f64 v[142:143], v[52:53], s[20:21], v[76:77]
	s_mov_b32 s59, 0xbfe0d888
	v_mul_f64 v[46:47], v[44:45], s[48:49]
	v_mul_f64 v[48:49], v[44:45], s[44:45]
	s_mov_b32 s58, s50
	s_waitcnt lgkmcnt(0)
	s_barrier
	v_add_f64 v[92:93], v[140:141], v[92:93]
	v_add_f64 v[90:91], v[142:143], v[90:91]
	v_fma_f64 v[140:141], v[42:43], s[52:53], v[46:47]
	v_fma_f64 v[142:143], v[42:43], s[58:59], v[48:49]
	v_add_f64 v[92:93], v[140:141], v[92:93]
	v_add_f64 v[90:91], v[142:143], v[90:91]
	s_and_saveexec_b64 s[40:41], s[2:3]
	s_cbranch_execz .LBB0_28
; %bb.27:
	v_add_f64 v[66:67], v[0:1], v[66:67]
	v_mul_f64 v[140:141], v[118:119], s[18:19]
	v_mul_f64 v[182:183], v[136:137], s[16:17]
	s_mov_b32 s3, 0x3fefdd0d
	s_mov_b32 s2, s20
	v_mul_f64 v[142:143], v[118:119], s[8:9]
	v_mul_f64 v[156:157], v[120:121], s[20:21]
	;; [unrolled: 1-line block ×3, first 2 shown]
	v_add_f64 v[66:67], v[66:67], v[74:75]
	v_mul_f64 v[184:185], v[136:137], s[26:27]
	v_mul_f64 v[188:189], v[134:135], s[30:31]
	v_add_f64 v[122:123], v[122:123], -v[140:141]
	v_fma_f64 v[140:141], v[118:119], s[20:21], v[182:183]
	s_mov_b32 s55, 0xbfeec746
	s_mov_b32 s54, s28
	v_mul_f64 v[158:159], v[120:121], s[24:25]
	v_add_f64 v[66:67], v[66:67], v[70:71]
	v_mul_f64 v[162:163], v[110:111], s[34:35]
	v_mul_f64 v[186:187], v[136:137], s[44:45]
	v_mul_f64 v[190:191], v[134:135], s[44:45]
	v_fma_f64 v[202:203], v[118:119], s[52:53], v[180:181]
	v_fma_f64 v[180:181], v[118:119], s[46:47], v[180:181]
	v_add_f64 v[124:125], v[124:125], -v[142:143]
	v_fma_f64 v[142:143], v[118:119], s[28:29], v[184:185]
	v_add_f64 v[60:61], v[66:67], v[60:61]
	v_mul_f64 v[66:67], v[136:137], s[22:23]
	v_mul_f64 v[136:137], v[136:137], s[30:31]
	v_add_f64 v[126:127], v[126:127], -v[156:157]
	v_fma_f64 v[156:157], v[120:121], s[36:37], v[188:189]
	s_mov_b32 s57, 0x3fe9895b
	s_mov_b32 s56, s24
	v_mul_f64 v[160:161], v[110:111], s[24:25]
	v_add_f64 v[58:59], v[60:61], v[58:59]
	v_mul_f64 v[60:61], v[134:135], s[14:15]
	v_mul_f64 v[192:193], v[134:135], s[26:27]
	;; [unrolled: 1-line block ×6, first 2 shown]
	v_fma_f64 v[204:205], v[118:119], s[50:51], v[186:187]
	v_add_f64 v[56:57], v[58:59], v[56:57]
	v_mul_f64 v[58:59], v[112:113], s[26:27]
	v_add_f64 v[130:131], v[130:131], -v[158:159]
	v_add_f64 v[132:133], v[132:133], -v[162:163]
	v_add_f64 v[162:163], v[0:1], v[202:203]
	v_add_f64 v[180:181], v[0:1], v[180:181]
	;; [unrolled: 1-line block ×5, first 2 shown]
	v_fma_f64 v[56:57], v[118:119], s[2:3], v[182:183]
	v_fma_f64 v[182:183], v[118:119], s[54:55], v[184:185]
	;; [unrolled: 1-line block ×4, first 2 shown]
	v_mul_f64 v[200:201], v[112:113], s[48:49]
	v_fma_f64 v[158:159], v[120:121], s[58:59], v[190:191]
	v_fma_f64 v[206:207], v[120:121], s[8:9], v[194:195]
	v_add_f64 v[38:39], v[50:51], v[38:39]
	v_fma_f64 v[50:51], v[118:119], s[58:59], v[186:187]
	v_fma_f64 v[186:187], v[118:119], s[34:35], v[136:137]
	;; [unrolled: 1-line block ×5, first 2 shown]
	v_add_f64 v[128:129], v[128:129], -v[160:161]
	v_add_f64 v[66:67], v[0:1], v[66:67]
	v_add_f64 v[38:39], v[38:39], v[40:41]
	v_fma_f64 v[40:41], v[120:121], s[34:35], v[188:189]
	v_fma_f64 v[188:189], v[120:121], s[50:51], v[190:191]
	;; [unrolled: 1-line block ×4, first 2 shown]
	v_add_f64 v[60:61], v[60:61], v[180:181]
	v_add_f64 v[122:123], v[126:127], v[122:123]
	;; [unrolled: 1-line block ×4, first 2 shown]
	v_fma_f64 v[38:39], v[120:121], s[42:43], v[194:195]
	v_fma_f64 v[194:195], v[120:121], s[46:47], v[134:135]
	;; [unrolled: 1-line block ×5, first 2 shown]
	v_mul_f64 v[164:165], v[102:103], s[36:37]
	v_add_f64 v[66:67], v[192:193], v[66:67]
	v_add_f64 v[30:31], v[34:35], v[30:31]
	v_fma_f64 v[34:35], v[110:111], s[54:55], v[58:59]
	v_fma_f64 v[58:59], v[110:111], s[28:29], v[58:59]
	v_mul_f64 v[74:75], v[102:103], s[28:29]
	v_fma_f64 v[160:161], v[110:111], s[18:19], v[198:199]
	v_mul_f64 v[166:167], v[78:79], s[50:51]
	v_add_f64 v[114:115], v[114:115], -v[164:165]
	v_mul_f64 v[168:169], v[78:79], s[38:39]
	v_add_f64 v[30:31], v[30:31], v[36:37]
	v_add_f64 v[36:37], v[0:1], v[56:57]
	;; [unrolled: 1-line block ×7, first 2 shown]
	v_add_f64 v[106:107], v[106:107], -v[166:167]
	v_add_f64 v[28:29], v[30:31], v[28:29]
	v_add_f64 v[30:31], v[0:1], v[50:51]
	;; [unrolled: 1-line block ×5, first 2 shown]
	v_add_f64 v[108:109], v[108:109], -v[168:169]
	v_add_f64 v[130:131], v[206:207], v[184:185]
	v_add_f64 v[126:127], v[190:191], v[182:183]
	;; [unrolled: 1-line block ×7, first 2 shown]
	v_fma_f64 v[120:121], v[110:111], s[46:47], v[200:201]
	v_add_f64 v[40:41], v[158:159], v[140:141]
	v_mul_f64 v[170:171], v[64:65], s[28:29]
	v_add_f64 v[26:27], v[28:29], v[26:27]
	v_add_f64 v[32:33], v[34:35], v[32:33]
	;; [unrolled: 1-line block ×3, first 2 shown]
	v_fma_f64 v[36:37], v[110:111], s[38:39], v[198:199]
	v_mul_f64 v[58:59], v[112:113], s[44:45]
	v_add_f64 v[28:29], v[38:39], v[30:31]
	v_add_f64 v[30:31], v[194:195], v[50:51]
	;; [unrolled: 1-line block ×4, first 2 shown]
	v_mul_f64 v[54:55], v[112:113], s[16:17]
	v_add_f64 v[50:51], v[196:197], v[60:61]
	v_add_f64 v[60:61], v[128:129], v[122:123]
	;; [unrolled: 1-line block ×3, first 2 shown]
	v_mul_f64 v[124:125], v[104:105], s[16:17]
	v_add_f64 v[36:37], v[36:37], v[56:57]
	v_fma_f64 v[56:57], v[110:111], s[50:51], v[58:59]
	v_add_f64 v[66:67], v[120:121], v[66:67]
	v_fma_f64 v[122:123], v[110:111], s[2:3], v[54:55]
	v_fma_f64 v[54:55], v[110:111], s[20:21], v[54:55]
	;; [unrolled: 1-line block ×3, first 2 shown]
	v_mul_f64 v[120:121], v[104:105], s[48:49]
	v_add_f64 v[40:41], v[160:161], v[40:41]
	v_fma_f64 v[112:113], v[110:111], s[52:53], v[200:201]
	v_add_f64 v[30:31], v[56:57], v[30:31]
	v_fma_f64 v[56:57], v[102:103], s[20:21], v[124:125]
	v_add_f64 v[110:111], v[122:123], v[130:131]
	v_add_f64 v[28:29], v[54:55], v[28:29]
	v_fma_f64 v[54:55], v[102:103], s[2:3], v[124:125]
	v_add_f64 v[0:1], v[58:59], v[0:1]
	v_add_f64 v[58:59], v[116:117], -v[74:75]
	v_mul_f64 v[74:75], v[104:105], s[6:7]
	v_fma_f64 v[116:117], v[102:103], s[52:53], v[120:121]
	v_add_f64 v[50:51], v[56:57], v[50:51]
	v_add_f64 v[56:57], v[114:115], v[60:61]
	v_mul_f64 v[60:61], v[104:105], s[44:45]
	v_add_f64 v[38:39], v[54:55], v[38:39]
	v_fma_f64 v[54:55], v[102:103], s[46:47], v[120:121]
	v_add_f64 v[58:59], v[58:59], v[118:119]
	v_fma_f64 v[114:115], v[102:103], s[42:43], v[74:75]
	v_mul_f64 v[118:119], v[104:105], s[22:23]
	v_add_f64 v[34:35], v[116:117], v[34:35]
	v_mul_f64 v[172:173], v[64:65], s[46:47]
	v_add_f64 v[112:113], v[112:113], v[126:127]
	v_mul_f64 v[174:175], v[52:53], s[42:43]
	v_add_f64 v[32:33], v[54:55], v[32:33]
	v_fma_f64 v[54:55], v[102:103], s[8:9], v[74:75]
	v_mul_f64 v[74:75], v[104:105], s[14:15]
	v_fma_f64 v[104:105], v[102:103], s[50:51], v[60:61]
	v_fma_f64 v[60:61], v[102:103], s[58:59], v[60:61]
	v_add_f64 v[40:41], v[114:115], v[40:41]
	v_fma_f64 v[114:115], v[102:103], s[24:25], v[118:119]
	v_fma_f64 v[116:117], v[102:103], s[56:57], v[118:119]
	v_mul_f64 v[118:119], v[80:81], s[26:27]
	v_add_f64 v[36:37], v[54:55], v[36:37]
	v_fma_f64 v[54:55], v[102:103], s[18:19], v[74:75]
	v_add_f64 v[58:59], v[108:109], v[58:59]
	v_add_f64 v[60:61], v[60:61], v[66:67]
	v_fma_f64 v[66:67], v[102:103], s[38:39], v[74:75]
	v_add_f64 v[74:75], v[114:115], v[110:111]
	v_mul_f64 v[110:111], v[80:81], s[6:7]
	v_fma_f64 v[102:103], v[78:79], s[28:29], v[118:119]
	v_mul_f64 v[108:109], v[80:81], s[48:49]
	v_add_f64 v[30:31], v[54:55], v[30:31]
	v_fma_f64 v[54:55], v[78:79], s[54:55], v[118:119]
	v_add_f64 v[104:105], v[104:105], v[112:113]
	v_add_f64 v[0:1], v[66:67], v[0:1]
	v_mul_f64 v[66:67], v[80:81], s[30:31]
	v_add_f64 v[100:101], v[100:101], -v[172:173]
	v_add_f64 v[38:39], v[102:103], v[38:39]
	v_fma_f64 v[102:103], v[78:79], s[42:43], v[110:111]
	v_fma_f64 v[110:111], v[78:79], s[8:9], v[110:111]
	v_add_f64 v[50:51], v[54:55], v[50:51]
	v_add_f64 v[54:55], v[106:107], v[56:57]
	v_mul_f64 v[56:57], v[80:81], s[16:17]
	v_fma_f64 v[106:107], v[78:79], s[34:35], v[66:67]
	v_fma_f64 v[66:67], v[78:79], s[36:37], v[66:67]
	v_mul_f64 v[80:81], v[80:81], s[22:23]
	v_add_f64 v[32:33], v[102:103], v[32:33]
	v_add_f64 v[34:35], v[110:111], v[34:35]
	v_mul_f64 v[110:111], v[68:69], s[22:23]
	v_add_f64 v[58:59], v[100:101], v[58:59]
	v_fma_f64 v[102:103], v[78:79], s[20:21], v[56:57]
	v_add_f64 v[40:41], v[106:107], v[40:41]
	v_fma_f64 v[56:57], v[78:79], s[2:3], v[56:57]
	v_fma_f64 v[106:107], v[78:79], s[52:53], v[108:109]
	v_add_f64 v[36:37], v[66:67], v[36:37]
	v_fma_f64 v[66:67], v[78:79], s[56:57], v[80:81]
	v_fma_f64 v[108:109], v[78:79], s[46:47], v[108:109]
	;; [unrolled: 1-line block ×3, first 2 shown]
	v_mul_f64 v[80:81], v[68:69], s[44:45]
	v_add_f64 v[102:103], v[102:103], v[104:105]
	v_add_f64 v[56:57], v[56:57], v[60:61]
	;; [unrolled: 1-line block ×3, first 2 shown]
	v_fma_f64 v[74:75], v[64:65], s[56:57], v[110:111]
	v_add_f64 v[30:31], v[66:67], v[30:31]
	v_fma_f64 v[66:67], v[64:65], s[24:25], v[110:111]
	v_add_f64 v[0:1], v[78:79], v[0:1]
	v_add_f64 v[78:79], v[94:95], -v[170:171]
	v_mul_f64 v[94:95], v[68:69], s[16:17]
	v_mul_f64 v[100:101], v[68:69], s[30:31]
	;; [unrolled: 1-line block ×3, first 2 shown]
	v_add_f64 v[38:39], v[74:75], v[38:39]
	v_fma_f64 v[74:75], v[64:65], s[50:51], v[80:81]
	v_fma_f64 v[80:81], v[64:65], s[58:59], v[80:81]
	v_add_f64 v[50:51], v[66:67], v[50:51]
	v_mul_f64 v[66:67], v[68:69], s[14:15]
	v_add_f64 v[54:55], v[78:79], v[54:55]
	v_fma_f64 v[78:79], v[64:65], s[20:21], v[94:95]
	v_mul_f64 v[68:69], v[68:69], s[6:7]
	v_mul_f64 v[70:71], v[42:43], s[52:53]
	v_add_f64 v[32:33], v[74:75], v[32:33]
	v_add_f64 v[34:35], v[80:81], v[34:35]
	v_fma_f64 v[74:75], v[64:65], s[2:3], v[94:95]
	v_fma_f64 v[80:81], v[64:65], s[38:39], v[66:67]
	;; [unrolled: 1-line block ×3, first 2 shown]
	v_add_f64 v[40:41], v[78:79], v[40:41]
	v_fma_f64 v[78:79], v[64:65], s[34:35], v[100:101]
	v_fma_f64 v[94:95], v[64:65], s[36:37], v[100:101]
	v_mul_f64 v[100:101], v[62:63], s[44:45]
	v_mul_f64 v[178:179], v[42:43], s[58:59]
	v_add_f64 v[36:37], v[74:75], v[36:37]
	v_add_f64 v[74:75], v[80:81], v[102:103]
	v_fma_f64 v[80:81], v[64:65], s[8:9], v[68:69]
	v_fma_f64 v[64:65], v[64:65], s[42:43], v[68:69]
	v_add_f64 v[56:57], v[66:67], v[56:57]
	v_add_f64 v[60:61], v[78:79], v[60:61]
	v_fma_f64 v[66:67], v[52:53], s[50:51], v[100:101]
	v_mul_f64 v[68:69], v[62:63], s[22:23]
	v_fma_f64 v[78:79], v[52:53], s[58:59], v[100:101]
	v_add_f64 v[28:29], v[116:117], v[28:29]
	v_add_f64 v[46:47], v[46:47], -v[70:71]
	v_add_f64 v[0:1], v[64:65], v[0:1]
	v_add_f64 v[64:65], v[72:73], -v[174:175]
	v_add_f64 v[72:73], v[76:77], -v[176:177]
	v_mul_f64 v[76:77], v[62:63], s[48:49]
	v_add_f64 v[38:39], v[66:67], v[38:39]
	v_fma_f64 v[66:67], v[52:53], s[24:25], v[68:69]
	v_add_f64 v[50:51], v[78:79], v[50:51]
	v_mul_f64 v[78:79], v[62:63], s[30:31]
	v_fma_f64 v[68:69], v[52:53], s[56:57], v[68:69]
	v_add_f64 v[54:55], v[64:65], v[54:55]
	v_add_f64 v[58:59], v[72:73], v[58:59]
	v_fma_f64 v[64:65], v[52:53], s[52:53], v[76:77]
	v_mul_f64 v[72:73], v[62:63], s[14:15]
	v_add_f64 v[32:33], v[66:67], v[32:33]
	v_fma_f64 v[66:67], v[52:53], s[46:47], v[76:77]
	v_fma_f64 v[76:77], v[52:53], s[34:35], v[78:79]
	v_add_f64 v[34:35], v[68:69], v[34:35]
	v_mul_f64 v[62:63], v[62:63], s[26:27]
	v_fma_f64 v[68:69], v[52:53], s[36:37], v[78:79]
	v_add_f64 v[40:41], v[64:65], v[40:41]
	v_fma_f64 v[64:65], v[52:53], s[18:19], v[72:73]
	v_mul_f64 v[78:79], v[44:45], s[30:31]
	v_add_f64 v[36:37], v[66:67], v[36:37]
	v_add_f64 v[66:67], v[76:77], v[74:75]
	v_fma_f64 v[72:73], v[52:53], s[38:39], v[72:73]
	v_fma_f64 v[74:75], v[52:53], s[28:29], v[62:63]
	;; [unrolled: 1-line block ×3, first 2 shown]
	v_add_f64 v[48:49], v[48:49], -v[178:179]
	v_add_f64 v[60:61], v[64:65], v[60:61]
	v_fma_f64 v[62:63], v[42:43], s[34:35], v[78:79]
	v_mul_f64 v[64:65], v[44:45], s[14:15]
	v_add_f64 v[28:29], v[108:109], v[28:29]
	v_add_f64 v[56:57], v[68:69], v[56:57]
	v_fma_f64 v[68:69], v[42:43], s[36:37], v[78:79]
	v_add_f64 v[0:1], v[52:53], v[0:1]
	v_add_f64 v[46:47], v[46:47], v[54:55]
	v_mul_f64 v[54:55], v[44:45], s[6:7]
	v_add_f64 v[38:39], v[62:63], v[38:39]
	v_fma_f64 v[52:53], v[42:43], s[18:19], v[64:65]
	v_fma_f64 v[62:63], v[42:43], s[38:39], v[64:65]
	v_mul_f64 v[64:65], v[44:45], s[22:23]
	v_add_f64 v[48:49], v[48:49], v[58:59]
	v_mul_f64 v[58:59], v[44:45], s[26:27]
	v_add_f64 v[30:31], v[80:81], v[30:31]
	;; [unrolled: 2-line block ×3, first 2 shown]
	v_add_f64 v[32:33], v[52:53], v[32:33]
	v_add_f64 v[50:51], v[68:69], v[50:51]
	v_fma_f64 v[52:53], v[42:43], s[56:57], v[64:65]
	v_add_f64 v[34:35], v[62:63], v[34:35]
	v_fma_f64 v[62:63], v[42:43], s[24:25], v[64:65]
	v_fma_f64 v[64:65], v[42:43], s[8:9], v[54:55]
	v_fma_f64 v[54:55], v[42:43], s[42:43], v[54:55]
	v_fma_f64 v[68:69], v[42:43], s[28:29], v[58:59]
	v_add_f64 v[30:31], v[74:75], v[30:31]
	v_fma_f64 v[58:59], v[42:43], s[54:55], v[58:59]
	v_fma_f64 v[70:71], v[42:43], s[20:21], v[44:45]
	;; [unrolled: 1-line block ×3, first 2 shown]
	v_add_f64 v[28:29], v[72:73], v[28:29]
	v_add_f64 v[40:41], v[52:53], v[40:41]
	;; [unrolled: 1-line block ×8, first 2 shown]
	v_mul_u32_u24_e32 v42, 34, v155
	v_add_f64 v[28:29], v[58:59], v[28:29]
	v_or_b32_e32 v42, v42, v153
	v_lshlrev_b32_e32 v42, 3, v42
	v_add3_u32 v42, 0, v42, v147
	ds_write2_b64 v42, v[26:27], v[38:39] offset1:2
	ds_write2_b64 v42, v[46:47], v[48:49] offset0:4 offset1:6
	ds_write2_b64 v42, v[32:33], v[40:41] offset0:8 offset1:10
	;; [unrolled: 1-line block ×7, first 2 shown]
	ds_write_b64 v42, v[50:51] offset:256
.LBB0_28:
	s_or_b64 exec, exec, s[40:41]
	v_add_u32_e32 v0, 0xc00, v139
	s_waitcnt lgkmcnt(0)
	s_barrier
	ds_read2_b64 v[38:41], v0 offset0:126 offset1:194
	ds_read2_b64 v[26:29], v139 offset0:68 offset1:136
	v_add_u32_e32 v0, 0x1000, v139
	ds_read2_b64 v[42:45], v0 offset0:134 offset1:202
	v_add_u32_e32 v0, 0x400, v139
	;; [unrolled: 2-line block ×4, first 2 shown]
	ds_read2_b64 v[34:37], v0 offset0:84 offset1:152
	ds_read_b64 v[0:1], v138
	ds_read_b64 v[94:95], v139 offset:7344
	s_and_saveexec_b64 s[2:3], vcc
	s_cbranch_execz .LBB0_30
; %bb.29:
	ds_read_b64 v[90:91], v139 offset:3808
	ds_read_b64 v[92:93], v139 offset:7888
.LBB0_30:
	s_or_b64 exec, exec, s[2:3]
	v_subrev_u32_e32 v50, 34, v144
	v_cndmask_b32_e32 v100, v50, v144, vcc
	v_mov_b32_e32 v101, 0
	v_lshlrev_b64 v[50:51], 4, v[100:101]
	v_mov_b32_e32 v52, s13
	v_add_co_u32_e64 v58, s[2:3], s12, v50
	v_addc_co_u32_e64 v59, s[2:3], v52, v51, s[2:3]
	s_movk_i32 s2, 0xf1
	v_mul_lo_u16_sdwa v50, v145, s2 dst_sel:DWORD dst_unused:UNUSED_PAD src0_sel:BYTE_0 src1_sel:DWORD
	v_lshrrev_b16_e32 v101, 13, v50
	v_mul_lo_u16_e32 v50, 34, v101
	v_sub_u16_e32 v102, v145, v50
	v_mov_b32_e32 v60, 4
	v_lshlrev_b32_sdwa v61, v60, v102 dst_sel:DWORD dst_unused:UNUSED_PAD src0_sel:DWORD src1_sel:BYTE_0
	global_load_dwordx4 v[50:53], v[58:59], off offset:512
	global_load_dwordx4 v[54:57], v61, s[12:13] offset:512
	v_mul_lo_u16_sdwa v58, v146, s2 dst_sel:DWORD dst_unused:UNUSED_PAD src0_sel:BYTE_0 src1_sel:DWORD
	v_lshrrev_b16_e32 v103, 13, v58
	v_mul_lo_u16_e32 v58, 34, v103
	s_mov_b32 s2, 0xf0f1
	v_sub_u16_e32 v104, v146, v58
	v_mul_u32_u24_sdwa v58, v149, s2 dst_sel:DWORD dst_unused:UNUSED_PAD src0_sel:WORD_0 src1_sel:DWORD
	v_lshrrev_b32_e32 v105, 21, v58
	v_mul_lo_u16_e32 v58, 34, v105
	v_lshlrev_b32_sdwa v66, v60, v104 dst_sel:DWORD dst_unused:UNUSED_PAD src0_sel:DWORD src1_sel:BYTE_0
	v_sub_u16_e32 v106, v149, v58
	v_lshlrev_b32_e32 v67, 4, v106
	global_load_dwordx4 v[58:61], v66, s[12:13] offset:512
	global_load_dwordx4 v[62:65], v67, s[12:13] offset:512
	v_mul_u32_u24_sdwa v66, v148, s2 dst_sel:DWORD dst_unused:UNUSED_PAD src0_sel:WORD_0 src1_sel:DWORD
	v_lshrrev_b32_e32 v107, 21, v66
	v_mul_u32_u24_sdwa v67, v152, s2 dst_sel:DWORD dst_unused:UNUSED_PAD src0_sel:WORD_0 src1_sel:DWORD
	v_mul_lo_u16_e32 v66, 34, v107
	v_lshrrev_b32_e32 v109, 21, v67
	v_sub_u16_e32 v108, v148, v66
	v_mul_lo_u16_e32 v67, 34, v109
	v_lshlrev_b32_e32 v66, 4, v108
	v_sub_u16_e32 v110, v152, v67
	v_lshlrev_b32_e32 v67, 4, v110
	global_load_dwordx4 v[70:73], v66, s[12:13] offset:512
	global_load_dwordx4 v[74:77], v67, s[12:13] offset:512
	v_mul_u32_u24_sdwa v66, v151, s2 dst_sel:DWORD dst_unused:UNUSED_PAD src0_sel:WORD_0 src1_sel:DWORD
	v_lshrrev_b32_e32 v111, 21, v66
	v_mul_lo_u16_e32 v66, 34, v111
	v_sub_u16_e32 v112, v151, v66
	v_lshlrev_b32_e32 v66, 4, v112
	global_load_dwordx4 v[78:81], v66, s[12:13] offset:512
	v_mul_u32_u24_sdwa v66, v150, s2 dst_sel:DWORD dst_unused:UNUSED_PAD src0_sel:WORD_0 src1_sel:DWORD
	v_lshrrev_b32_e32 v66, 21, v66
	v_mul_lo_u16_e32 v66, 34, v66
	v_sub_u16_e32 v123, v150, v66
	v_lshlrev_b32_e32 v66, 4, v123
	global_load_dwordx4 v[66:69], v66, s[12:13] offset:512
	s_movk_i32 s6, 0x220
	v_mov_b32_e32 v114, 3
	v_mad_u32_u24 v101, v101, s6, 0
	v_mad_u32_u24 v103, v103, s6, 0
	v_lshlrev_b32_sdwa v102, v114, v102 dst_sel:DWORD dst_unused:UNUSED_PAD src0_sel:DWORD src1_sel:BYTE_0
	v_lshlrev_b32_sdwa v104, v114, v104 dst_sel:DWORD dst_unused:UNUSED_PAD src0_sel:DWORD src1_sel:BYTE_0
	v_mad_u32_u24 v118, v105, s6, 0
	v_add3_u32 v101, v101, v102, v147
	v_add3_u32 v102, v103, v104, v147
	v_mov_b32_e32 v113, 0x220
	v_cmp_lt_u32_e64 s[2:3], 33, v144
	v_mad_u32_u24 v120, v107, s6, 0
	v_lshlrev_b32_e32 v119, 3, v106
	v_cndmask_b32_e64 v113, 0, v113, s[2:3]
	v_mad_u32_u24 v121, v109, s6, 0
	v_lshlrev_b32_e32 v122, 3, v108
	v_add_u32_e32 v113, 0, v113
	v_lshlrev_b32_e32 v100, 3, v100
	v_mad_u32_u24 v124, v111, s6, 0
	v_lshlrev_b32_e32 v125, 3, v110
	v_add3_u32 v100, v113, v100, v147
	v_lshlrev_b32_e32 v126, 3, v112
	v_add3_u32 v103, v118, v119, v147
	s_waitcnt vmcnt(0) lgkmcnt(0)
	s_barrier
	v_mul_f64 v[104:105], v[38:39], v[52:53]
	v_mul_f64 v[106:107], v[40:41], v[56:57]
	v_fma_f64 v[118:119], v[10:11], v[50:51], v[104:105]
	v_fma_f64 v[105:106], v[12:13], v[54:55], v[106:107]
	v_add3_u32 v104, v120, v122, v147
	v_mul_f64 v[108:109], v[42:43], v[60:61]
	v_mul_f64 v[110:111], v[44:45], v[64:65]
	v_fma_f64 v[107:108], v[2:3], v[58:59], v[108:109]
	v_fma_f64 v[109:110], v[4:5], v[62:63], v[110:111]
	v_mul_f64 v[112:113], v[46:47], v[72:73]
	v_mul_f64 v[114:115], v[48:49], v[76:77]
	;; [unrolled: 1-line block ×3, first 2 shown]
	v_fma_f64 v[111:112], v[6:7], v[70:71], v[112:113]
	v_fma_f64 v[113:114], v[8:9], v[74:75], v[114:115]
	;; [unrolled: 1-line block ×3, first 2 shown]
	v_add_f64 v[117:118], v[88:89], -v[118:119]
	v_add_f64 v[119:120], v[14:15], -v[105:106]
	;; [unrolled: 1-line block ×6, first 2 shown]
	v_add3_u32 v105, v121, v125, v147
	v_add_f64 v[114:115], v[24:25], -v[115:116]
	v_fma_f64 v[121:122], v[88:89], 2.0, -v[117:118]
	v_fma_f64 v[14:15], v[14:15], 2.0, -v[119:120]
	;; [unrolled: 1-line block ×6, first 2 shown]
	v_add3_u32 v89, v124, v126, v147
	v_fma_f64 v[24:25], v[24:25], 2.0, -v[114:115]
	v_lshlrev_b32_e32 v88, 3, v123
	ds_write2_b64 v100, v[121:122], v[117:118] offset1:34
	ds_write2_b64 v101, v[14:15], v[119:120] offset1:34
	;; [unrolled: 1-line block ×7, first 2 shown]
	s_and_saveexec_b64 s[2:3], vcc
	s_cbranch_execz .LBB0_32
; %bb.31:
	v_mul_f64 v[14:15], v[92:93], v[68:69]
	v_add3_u32 v18, 0, v88, v147
	v_add_u32_e32 v18, 0x1800, v18
	v_fma_f64 v[14:15], v[82:83], v[66:67], v[14:15]
	v_add_f64 v[14:15], v[84:85], -v[14:15]
	v_fma_f64 v[16:17], v[84:85], 2.0, -v[14:15]
	ds_write2_b64 v18, v[16:17], v[14:15] offset0:184 offset1:218
.LBB0_32:
	s_or_b64 exec, exec, s[2:3]
	v_mul_f64 v[10:11], v[10:11], v[52:53]
	v_mul_f64 v[12:13], v[12:13], v[56:57]
	;; [unrolled: 1-line block ×7, first 2 shown]
	s_waitcnt lgkmcnt(0)
	v_fma_f64 v[10:11], v[38:39], v[50:51], -v[10:11]
	v_fma_f64 v[12:13], v[40:41], v[54:55], -v[12:13]
	;; [unrolled: 1-line block ×7, first 2 shown]
	s_barrier
	v_add_f64 v[39:40], v[0:1], -v[10:11]
	v_add_f64 v[41:42], v[26:27], -v[12:13]
	;; [unrolled: 1-line block ×7, first 2 shown]
	v_fma_f64 v[53:54], v[0:1], 2.0, -v[39:40]
	v_fma_f64 v[55:56], v[26:27], 2.0, -v[41:42]
	;; [unrolled: 1-line block ×6, first 2 shown]
	v_add_u32_e32 v30, 0x800, v139
	v_add_u32_e32 v31, 0x1000, v139
	;; [unrolled: 1-line block ×6, first 2 shown]
	ds_read_b64 v[28:29], v138
	ds_read2_b64 v[24:27], v30 offset0:84 offset1:152
	ds_read2_b64 v[8:11], v31 offset0:100 offset1:168
	;; [unrolled: 1-line block ×7, first 2 shown]
	v_fma_f64 v[36:37], v[36:37], 2.0, -v[51:52]
	v_lshlrev_b32_e32 v38, 1, v144
	s_waitcnt lgkmcnt(0)
	s_barrier
	ds_write2_b64 v100, v[53:54], v[39:40] offset1:34
	ds_write2_b64 v101, v[55:56], v[41:42] offset1:34
	;; [unrolled: 1-line block ×7, first 2 shown]
	s_and_saveexec_b64 s[2:3], vcc
	s_cbranch_execz .LBB0_34
; %bb.33:
	v_mul_f64 v[36:37], v[82:83], v[68:69]
	v_add3_u32 v41, 0, v88, v147
	v_add_u32_e32 v41, 0x1800, v41
	v_fma_f64 v[36:37], v[92:93], v[66:67], -v[36:37]
	v_add_f64 v[36:37], v[90:91], -v[36:37]
	v_fma_f64 v[39:40], v[90:91], 2.0, -v[36:37]
	ds_write2_b64 v41, v[39:40], v[36:37] offset0:184 offset1:218
.LBB0_34:
	s_or_b64 exec, exec, s[2:3]
	v_mov_b32_e32 v39, 0
	v_lshlrev_b64 v[36:37], 4, v[38:39]
	v_mov_b32_e32 v38, s13
	v_add_co_u32_e32 v36, vcc, s12, v36
	v_addc_co_u32_e32 v37, vcc, v38, v37, vcc
	s_movk_i32 s2, 0x79
	s_waitcnt lgkmcnt(0)
	s_barrier
	global_load_dwordx4 v[40:43], v[36:37], off offset:1072
	global_load_dwordx4 v[44:47], v[36:37], off offset:1056
	v_mul_lo_u16_sdwa v36, v146, s2 dst_sel:DWORD dst_unused:UNUSED_PAD src0_sel:BYTE_0 src1_sel:DWORD
	v_lshrrev_b16_e32 v36, 13, v36
	v_mul_lo_u16_e32 v36, 0x44, v36
	v_sub_u16_e32 v38, v146, v36
	v_mov_b32_e32 v36, 5
	v_lshlrev_b32_sdwa v36, v36, v38 dst_sel:DWORD dst_unused:UNUSED_PAD src0_sel:DWORD src1_sel:BYTE_0
	s_mov_b32 s2, 0xf0f1
	global_load_dwordx4 v[48:51], v36, s[12:13] offset:1072
	global_load_dwordx4 v[52:55], v36, s[12:13] offset:1056
	v_mul_u32_u24_sdwa v36, v149, s2 dst_sel:DWORD dst_unused:UNUSED_PAD src0_sel:WORD_0 src1_sel:DWORD
	v_lshrrev_b32_e32 v36, 22, v36
	v_mul_lo_u16_e32 v36, 0x44, v36
	v_sub_u16_e32 v128, v149, v36
	v_lshlrev_b32_e32 v36, 5, v128
	global_load_dwordx4 v[56:59], v36, s[12:13] offset:1072
	global_load_dwordx4 v[60:63], v36, s[12:13] offset:1056
	v_mul_u32_u24_sdwa v36, v148, s2 dst_sel:DWORD dst_unused:UNUSED_PAD src0_sel:WORD_0 src1_sel:DWORD
	v_lshrrev_b32_e32 v36, 22, v36
	v_mul_lo_u16_e32 v36, 0x44, v36
	v_sub_u16_e32 v129, v148, v36
	v_lshlrev_b32_e32 v36, 5, v129
	global_load_dwordx4 v[64:67], v36, s[12:13] offset:1056
	global_load_dwordx4 v[68:71], v36, s[12:13] offset:1072
	ds_read_b64 v[36:37], v138
	ds_read2_b64 v[72:75], v30 offset0:84 offset1:152
	ds_read2_b64 v[76:79], v31 offset0:100 offset1:168
	;; [unrolled: 1-line block ×7, first 2 shown]
	s_mov_b32 s2, 0xe8584caa
	s_mov_b32 s3, 0xbfebb67a
	;; [unrolled: 1-line block ×4, first 2 shown]
	s_waitcnt vmcnt(0) lgkmcnt(0)
	s_barrier
	v_mul_f64 v[108:109], v[78:79], v[42:43]
	v_mul_f64 v[104:105], v[72:73], v[46:47]
	;; [unrolled: 1-line block ×12, first 2 shown]
	v_fma_f64 v[24:25], v[24:25], v[44:45], v[104:105]
	v_fma_f64 v[72:73], v[72:73], v[44:45], -v[106:107]
	v_mul_f64 v[122:123], v[100:101], v[58:59]
	v_mul_f64 v[120:121], v[90:91], v[62:63]
	;; [unrolled: 1-line block ×4, first 2 shown]
	v_fma_f64 v[10:11], v[10:11], v[40:41], v[108:109]
	v_fma_f64 v[78:79], v[78:79], v[40:41], -v[110:111]
	v_mul_f64 v[124:125], v[76:77], v[66:67]
	v_mul_f64 v[66:67], v[8:9], v[66:67]
	;; [unrolled: 1-line block ×4, first 2 shown]
	v_fma_f64 v[26:27], v[26:27], v[44:45], v[112:113]
	v_fma_f64 v[44:45], v[74:75], v[44:45], -v[46:47]
	v_fma_f64 v[20:21], v[20:21], v[40:41], v[114:115]
	v_fma_f64 v[40:41], v[84:85], v[40:41], -v[42:43]
	;; [unrolled: 2-line block ×5, first 2 shown]
	v_fma_f64 v[50:51], v[100:101], v[56:57], -v[58:59]
	v_fma_f64 v[8:9], v[8:9], v[64:65], v[124:125]
	v_fma_f64 v[52:53], v[76:77], v[64:65], -v[66:67]
	v_fma_f64 v[14:15], v[14:15], v[68:69], v[126:127]
	v_fma_f64 v[54:55], v[102:103], v[68:69], -v[70:71]
	v_add_f64 v[58:59], v[24:25], v[10:11]
	v_add_f64 v[60:61], v[72:73], -v[78:79]
	v_add_f64 v[62:63], v[36:37], v[72:73]
	v_add_f64 v[64:65], v[72:73], v[78:79]
	;; [unrolled: 1-line block ×3, first 2 shown]
	v_add_f64 v[70:71], v[44:45], -v[40:41]
	v_add_f64 v[72:73], v[80:81], v[44:45]
	v_add_f64 v[44:45], v[44:45], v[40:41]
	v_fma_f64 v[12:13], v[12:13], v[56:57], v[122:123]
	v_add_f64 v[56:57], v[28:29], v[24:25]
	v_add_f64 v[24:25], v[24:25], -v[10:11]
	v_add_f64 v[66:67], v[4:5], v[26:27]
	v_add_f64 v[26:27], v[26:27], -v[20:21]
	v_add_f64 v[76:77], v[16:17], v[22:23]
	v_add_f64 v[84:85], v[42:43], v[46:47]
	v_fma_f64 v[28:29], v[58:59], -0.5, v[28:29]
	v_fma_f64 v[36:37], v[64:65], -0.5, v[36:37]
	;; [unrolled: 1-line block ×4, first 2 shown]
	v_add_f64 v[74:75], v[6:7], v[16:17]
	v_add_f64 v[10:11], v[56:57], v[10:11]
	v_add_f64 v[56:57], v[62:63], v[78:79]
	v_add_f64 v[20:21], v[66:67], v[20:21]
	v_fma_f64 v[58:59], v[60:61], s[2:3], v[28:29]
	v_fma_f64 v[28:29], v[60:61], s[6:7], v[28:29]
	;; [unrolled: 1-line block ×6, first 2 shown]
	v_fma_f64 v[6:7], v[76:77], -0.5, v[6:7]
	v_add_f64 v[62:63], v[42:43], -v[46:47]
	v_fma_f64 v[64:65], v[26:27], s[6:7], v[44:45]
	v_add_f64 v[66:67], v[18:19], v[12:13]
	v_fma_f64 v[44:45], v[26:27], s[2:3], v[44:45]
	v_add_f64 v[26:27], v[82:83], v[42:43]
	v_fma_f64 v[42:43], v[84:85], -0.5, v[82:83]
	v_add_f64 v[16:17], v[16:17], -v[22:23]
	v_add_f64 v[70:71], v[0:1], v[18:19]
	v_fma_f64 v[68:69], v[62:63], s[2:3], v[6:7]
	v_fma_f64 v[6:7], v[62:63], s[6:7], v[6:7]
	v_fma_f64 v[0:1], v[66:67], -0.5, v[0:1]
	v_add_f64 v[66:67], v[48:49], -v[50:51]
	v_add_f64 v[46:47], v[26:27], v[46:47]
	v_add_f64 v[26:27], v[48:49], v[50:51]
	v_fma_f64 v[62:63], v[16:17], s[6:7], v[42:43]
	v_fma_f64 v[42:43], v[16:17], s[2:3], v[42:43]
	v_add_f64 v[16:17], v[70:71], v[12:13]
	v_add_f64 v[70:71], v[8:9], v[14:15]
	;; [unrolled: 1-line block ×3, first 2 shown]
	v_fma_f64 v[72:73], v[66:67], s[2:3], v[0:1]
	v_fma_f64 v[0:1], v[66:67], s[6:7], v[0:1]
	v_add_f64 v[66:67], v[52:53], v[54:55]
	v_add_f64 v[48:49], v[92:93], v[48:49]
	v_fma_f64 v[26:27], v[26:27], -0.5, v[92:93]
	v_add_f64 v[12:13], v[18:19], -v[12:13]
	v_add_f64 v[18:19], v[2:3], v[8:9]
	v_fma_f64 v[2:3], v[70:71], -0.5, v[2:3]
	v_add_f64 v[70:71], v[52:53], -v[54:55]
	v_add_f64 v[22:23], v[74:75], v[22:23]
	v_add_f64 v[52:53], v[94:95], v[52:53]
	v_fma_f64 v[66:67], v[66:67], -0.5, v[94:95]
	v_add_f64 v[8:9], v[8:9], -v[14:15]
	v_add_f64 v[48:49], v[48:49], v[50:51]
	v_fma_f64 v[50:51], v[12:13], s[6:7], v[26:27]
	v_fma_f64 v[74:75], v[12:13], s[2:3], v[26:27]
	v_add_f64 v[12:13], v[18:19], v[14:15]
	v_fma_f64 v[14:15], v[70:71], s[2:3], v[2:3]
	ds_write2_b64 v139, v[10:11], v[58:59] offset1:68
	ds_write2_b64 v139, v[28:29], v[20:21] offset0:136 offset1:204
	ds_write2_b64 v30, v[24:25], v[4:5] offset0:16 offset1:84
	v_mov_b32_e32 v4, 3
	v_fma_f64 v[2:3], v[70:71], s[6:7], v[2:3]
	v_lshlrev_b32_sdwa v4, v4, v38 dst_sel:DWORD dst_unused:UNUSED_PAD src0_sel:DWORD src1_sel:BYTE_0
	v_add3_u32 v38, 0, v4, v147
	v_lshlrev_b32_e32 v4, 3, v128
	v_add_u32_e32 v58, 0x800, v38
	v_add3_u32 v59, 0, v4, v147
	ds_write2_b64 v58, v[22:23], v[68:69] offset0:152 offset1:220
	ds_write_b64 v38, v[6:7] offset:4352
	v_add_u32_e32 v68, 0x1000, v59
	ds_write2_b64 v68, v[16:17], v[72:73] offset0:100 offset1:168
	ds_write_b64 v59, v[0:1] offset:5984
	v_lshlrev_b32_e32 v0, 3, v129
	v_add3_u32 v69, 0, v0, v147
	v_add_u32_e32 v70, 0x1800, v69
	v_add_f64 v[52:53], v[52:53], v[54:55]
	v_fma_f64 v[54:55], v[8:9], s[6:7], v[66:67]
	v_fma_f64 v[66:67], v[8:9], s[2:3], v[66:67]
	ds_write2_b64 v70, v[12:13], v[14:15] offset0:48 offset1:116
	ds_write_b64 v69, v[2:3] offset:7616
	s_waitcnt lgkmcnt(0)
	s_barrier
	ds_read_b64 v[28:29], v138
	ds_read2_b64 v[0:3], v35 offset0:76 offset1:144
	ds_read2_b64 v[8:11], v30 offset0:84 offset1:152
	;; [unrolled: 1-line block ×7, first 2 shown]
	s_waitcnt lgkmcnt(0)
	s_barrier
	ds_write2_b64 v139, v[56:57], v[60:61] offset1:68
	ds_write2_b64 v139, v[36:37], v[40:41] offset0:136 offset1:204
	ds_write2_b64 v30, v[64:65], v[44:45] offset0:16 offset1:84
	;; [unrolled: 1-line block ×3, first 2 shown]
	ds_write_b64 v38, v[42:43] offset:4352
	ds_write2_b64 v68, v[48:49], v[50:51] offset0:100 offset1:168
	ds_write_b64 v59, v[74:75] offset:5984
	ds_write2_b64 v70, v[52:53], v[54:55] offset0:48 offset1:116
	ds_write_b64 v69, v[66:67] offset:7616
	s_waitcnt lgkmcnt(0)
	s_barrier
	s_and_saveexec_b64 s[2:3], s[0:1]
	s_cbranch_execz .LBB0_36
; %bb.35:
	v_lshlrev_b32_e32 v38, 2, v146
	v_lshlrev_b64 v[30:31], 4, v[38:39]
	v_mov_b32_e32 v94, s13
	v_add_co_u32_e32 v48, vcc, s12, v30
	v_addc_co_u32_e32 v49, vcc, v94, v31, vcc
	global_load_dwordx4 v[30:33], v[48:49], off offset:3280
	global_load_dwordx4 v[34:37], v[48:49], off offset:3264
	;; [unrolled: 1-line block ×4, first 2 shown]
	v_lshlrev_b32_e32 v38, 2, v145
	v_lshlrev_b64 v[48:49], 4, v[38:39]
	v_add_u32_e32 v38, 0xc00, v139
	v_add_co_u32_e32 v64, vcc, s12, v48
	v_addc_co_u32_e32 v65, vcc, v94, v49, vcc
	global_load_dwordx4 v[48:51], v[64:65], off offset:3248
	global_load_dwordx4 v[52:55], v[64:65], off offset:3232
	global_load_dwordx4 v[56:59], v[64:65], off offset:3264
	global_load_dwordx4 v[60:63], v[64:65], off offset:3280
	v_add_u32_e32 v72, 0x800, v139
	v_add_u32_e32 v76, 0x1400, v139
	v_add_u32_e32 v80, 0x1800, v139
	ds_read2_b64 v[64:67], v139 offset0:68 offset1:136
	ds_read2_b64 v[68:71], v38 offset0:92 offset1:160
	ds_read2_b64 v[72:75], v72 offset0:84 offset1:152
	ds_read2_b64 v[76:79], v76 offset0:108 offset1:176
	ds_read2_b64 v[80:83], v80 offset0:116 offset1:184
	v_lshlrev_b32_e32 v38, 2, v144
	v_mul_lo_u32 v95, s5, v98
	v_mul_lo_u32 v99, s4, v99
	v_mad_u64_u32 v[110:111], s[0:1], s4, v98, 0
	v_lshlrev_b64 v[92:93], 4, v[38:39]
	v_add_u32_e32 v84, 0x400, v139
	v_add_co_u32_e32 v112, vcc, s12, v92
	v_add_u32_e32 v88, 0x1000, v139
	v_addc_co_u32_e32 v113, vcc, v94, v93, vcc
	ds_read2_b64 v[84:87], v84 offset0:76 offset1:144
	ds_read2_b64 v[88:91], v88 offset0:100 offset1:168
	v_add3_u32 v111, v111, v99, v95
	global_load_dwordx4 v[92:95], v[112:113], off offset:3280
	global_load_dwordx4 v[98:101], v[112:113], off offset:3264
	;; [unrolled: 1-line block ×4, first 2 shown]
	s_mov_b32 s6, 0x134454ff
	s_mov_b32 s7, 0x3fee6f0e
	;; [unrolled: 1-line block ×10, first 2 shown]
	s_movk_i32 s12, 0x1000
	s_waitcnt vmcnt(11)
	v_mul_f64 v[118:119], v[22:23], v[32:33]
	s_waitcnt vmcnt(10)
	v_mul_f64 v[116:117], v[4:5], v[36:37]
	;; [unrolled: 2-line block ×4, first 2 shown]
	s_waitcnt lgkmcnt(5)
	v_mul_f64 v[42:43], v[70:71], v[42:43]
	s_waitcnt lgkmcnt(3)
	v_mul_f64 v[36:37], v[76:77], v[36:37]
	v_mul_f64 v[46:47], v[72:73], v[46:47]
	s_waitcnt lgkmcnt(2)
	v_mul_f64 v[32:33], v[82:83], v[32:33]
	v_fma_f64 v[82:83], v[82:83], v[30:31], -v[118:119]
	v_fma_f64 v[76:77], v[76:77], v[34:35], -v[116:117]
	;; [unrolled: 1-line block ×4, first 2 shown]
	s_waitcnt vmcnt(5)
	v_mul_f64 v[124:125], v[14:15], v[58:59]
	s_waitcnt vmcnt(4)
	v_mul_f64 v[126:127], v[20:21], v[62:63]
	v_fma_f64 v[26:27], v[26:27], v[40:41], v[42:43]
	v_fma_f64 v[40:41], v[4:5], v[34:35], v[36:37]
	;; [unrolled: 1-line block ×4, first 2 shown]
	s_waitcnt lgkmcnt(0)
	v_mul_f64 v[42:43], v[90:91], v[58:59]
	v_add_f64 v[22:23], v[70:71], -v[72:73]
	v_add_f64 v[30:31], v[76:77], -v[82:83]
	v_add_f64 v[34:35], v[72:73], v[82:83]
	v_add_f64 v[58:59], v[72:73], -v[70:71]
	v_add_f64 v[112:113], v[82:83], -v[76:77]
	v_add_f64 v[114:115], v[70:71], v[76:77]
	v_fma_f64 v[46:47], v[80:81], v[60:61], -v[126:127]
	v_add_f64 v[32:33], v[26:27], -v[40:41]
	v_add_f64 v[36:37], v[4:5], -v[8:9]
	v_add_f64 v[116:117], v[72:73], v[66:67]
	v_add_f64 v[118:119], v[26:27], -v[4:5]
	v_add_f64 v[126:127], v[4:5], v[8:9]
	;; [unrolled: 2-line block ×3, first 2 shown]
	v_add_f64 v[22:23], v[22:23], v[30:31]
	v_fma_f64 v[30:31], v[34:35], -0.5, v[66:67]
	v_add_f64 v[34:35], v[58:59], v[112:113]
	v_fma_f64 v[58:59], v[114:115], -0.5, v[66:67]
	v_mul_f64 v[122:123], v[2:3], v[54:55]
	v_add_f64 v[134:135], v[26:27], v[40:41]
	v_add_f64 v[66:67], v[70:71], v[116:117]
	;; [unrolled: 1-line block ×3, first 2 shown]
	v_mul_f64 v[120:121], v[24:25], v[50:51]
	v_fma_f64 v[4:5], v[32:33], s[6:7], v[30:31]
	v_fma_f64 v[26:27], v[32:33], s[8:9], v[30:31]
	;; [unrolled: 1-line block ×4, first 2 shown]
	v_fma_f64 v[44:45], v[86:87], v[52:53], -v[122:123]
	v_add_f64 v[122:123], v[40:41], -v[8:9]
	v_add_f64 v[72:73], v[72:73], -v[82:83]
	v_fma_f64 v[112:113], v[126:127], -0.5, v[18:19]
	v_fma_f64 v[18:19], v[134:135], -0.5, v[18:19]
	v_add_f64 v[66:67], v[76:77], v[66:67]
	v_fma_f64 v[26:27], v[36:37], s[4:5], v[26:27]
	v_fma_f64 v[58:59], v[32:33], s[4:5], v[58:59]
	v_add_f64 v[128:129], v[70:71], -v[76:77]
	v_mul_f64 v[50:51], v[68:69], v[50:51]
	v_add_f64 v[132:133], v[8:9], -v[40:41]
	v_add_f64 v[70:71], v[118:119], v[122:123]
	v_fma_f64 v[76:77], v[72:73], s[6:7], v[18:19]
	v_fma_f64 v[122:123], v[36:37], s[2:3], v[4:5]
	;; [unrolled: 1-line block ×3, first 2 shown]
	v_add_f64 v[4:5], v[82:83], v[66:67]
	v_fma_f64 v[36:37], v[22:23], s[0:1], v[26:27]
	v_fma_f64 v[26:27], v[34:35], s[0:1], v[58:59]
	v_fma_f64 v[58:59], v[68:69], v[48:49], -v[120:121]
	v_fma_f64 v[66:67], v[90:91], v[56:57], -v[124:125]
	v_mul_f64 v[54:55], v[86:87], v[54:55]
	v_mul_f64 v[62:63], v[80:81], v[62:63]
	v_fma_f64 v[118:119], v[128:129], s[8:9], v[112:113]
	v_fma_f64 v[112:113], v[128:129], s[6:7], v[112:113]
	v_add_f64 v[114:115], v[130:131], v[132:133]
	v_fma_f64 v[48:49], v[24:25], v[48:49], v[50:51]
	v_fma_f64 v[50:51], v[14:15], v[56:57], v[42:43]
	v_add_f64 v[14:15], v[44:45], v[46:47]
	;; [unrolled: 3-line block ×4, first 2 shown]
	v_fma_f64 v[30:31], v[32:33], s[2:3], v[30:31]
	v_fma_f64 v[118:119], v[72:73], s[4:5], v[118:119]
	;; [unrolled: 1-line block ×3, first 2 shown]
	v_add_f64 v[56:57], v[48:49], -v[50:51]
	v_fma_f64 v[14:15], v[14:15], -0.5, v[64:65]
	v_fma_f64 v[20:21], v[114:115], s[0:1], v[24:25]
	v_fma_f64 v[24:25], v[114:115], s[0:1], v[18:19]
	v_add_f64 v[2:3], v[40:41], v[8:9]
	v_add_f64 v[18:19], v[52:53], -v[54:55]
	v_fma_f64 v[40:41], v[42:43], -0.5, v[64:65]
	v_fma_f64 v[32:33], v[22:23], s[0:1], v[122:123]
	v_fma_f64 v[22:23], v[34:35], s[0:1], v[30:31]
	;; [unrolled: 1-line block ×4, first 2 shown]
	v_add_f64 v[8:9], v[58:59], -v[44:45]
	v_add_f64 v[42:43], v[66:67], -v[46:47]
	;; [unrolled: 1-line block ×4, first 2 shown]
	v_add_f64 v[70:71], v[52:53], v[54:55]
	v_fma_f64 v[60:61], v[56:57], s[6:7], v[14:15]
	v_fma_f64 v[14:15], v[56:57], s[8:9], v[14:15]
	;; [unrolled: 1-line block ×3, first 2 shown]
	v_add_f64 v[76:77], v[50:51], -v[54:55]
	v_add_f64 v[8:9], v[8:9], v[42:43]
	v_add_f64 v[42:43], v[44:45], v[64:65]
	;; [unrolled: 1-line block ×3, first 2 shown]
	v_fma_f64 v[64:65], v[70:71], -0.5, v[16:17]
	v_add_f64 v[68:69], v[58:59], -v[66:67]
	v_fma_f64 v[60:61], v[18:19], s[2:3], v[60:61]
	v_fma_f64 v[14:15], v[18:19], s[4:5], v[14:15]
	;; [unrolled: 1-line block ×4, first 2 shown]
	v_add_f64 v[72:73], v[48:49], v[50:51]
	v_add_f64 v[40:41], v[58:59], v[42:43]
	v_add_f64 v[58:59], v[48:49], -v[52:53]
	v_add_f64 v[44:45], v[44:45], -v[46:47]
	v_fma_f64 v[80:81], v[68:69], s[8:9], v[64:65]
	v_fma_f64 v[64:65], v[68:69], s[6:7], v[64:65]
	;; [unrolled: 1-line block ×4, first 2 shown]
	v_fma_f64 v[56:57], v[72:73], -0.5, v[16:17]
	v_fma_f64 v[8:9], v[8:9], s[0:1], v[14:15]
	v_fma_f64 v[14:15], v[62:63], s[0:1], v[70:71]
	v_add_f64 v[40:41], v[66:67], v[40:41]
	v_add_f64 v[58:59], v[58:59], v[76:77]
	v_fma_f64 v[60:61], v[44:45], s[4:5], v[80:81]
	v_add_f64 v[66:67], v[52:53], -v[48:49]
	v_add_f64 v[70:71], v[54:55], -v[50:51]
	v_fma_f64 v[18:19], v[62:63], s[0:1], v[18:19]
	v_fma_f64 v[62:63], v[44:45], s[6:7], v[56:57]
	;; [unrolled: 1-line block ×3, first 2 shown]
	s_waitcnt vmcnt(0)
	v_mul_f64 v[72:73], v[0:1], v[108:109]
	v_fma_f64 v[44:45], v[44:45], s[2:3], v[64:65]
	v_mul_f64 v[64:65], v[6:7], v[94:95]
	v_add_f64 v[46:47], v[46:47], v[40:41]
	v_fma_f64 v[40:41], v[58:59], s[0:1], v[60:61]
	v_add_f64 v[60:61], v[66:67], v[70:71]
	v_mul_f64 v[66:67], v[10:11], v[104:105]
	v_mul_f64 v[70:71], v[12:13], v[100:101]
	v_fma_f64 v[62:63], v[68:69], s[4:5], v[62:63]
	v_fma_f64 v[56:57], v[68:69], s[2:3], v[56:57]
	v_fma_f64 v[68:69], v[84:85], v[106:107], -v[72:73]
	v_mul_f64 v[72:73], v[74:75], v[104:105]
	v_mul_f64 v[76:77], v[88:89], v[100:101]
	v_fma_f64 v[64:65], v[78:79], v[92:93], -v[64:65]
	v_add_f64 v[16:17], v[16:17], v[52:53]
	v_fma_f64 v[52:53], v[74:75], v[102:103], -v[66:67]
	v_mul_f64 v[66:67], v[84:85], v[108:109]
	v_mul_f64 v[74:75], v[78:79], v[94:95]
	v_fma_f64 v[70:71], v[88:89], v[98:99], -v[70:71]
	v_fma_f64 v[10:11], v[10:11], v[102:103], v[72:73]
	v_fma_f64 v[72:73], v[12:13], v[98:99], v[76:77]
	v_add_f64 v[12:13], v[68:69], v[64:65]
	v_add_f64 v[48:49], v[48:49], v[16:17]
	ds_read_b64 v[76:77], v138
	v_fma_f64 v[0:1], v[0:1], v[106:107], v[66:67]
	v_fma_f64 v[74:75], v[6:7], v[92:93], v[74:75]
	v_add_f64 v[16:17], v[52:53], v[70:71]
	v_add_f64 v[66:67], v[52:53], -v[68:69]
	v_add_f64 v[78:79], v[10:11], -v[72:73]
	s_waitcnt lgkmcnt(0)
	v_fma_f64 v[80:81], v[12:13], -0.5, v[76:77]
	v_add_f64 v[82:83], v[70:71], -v[64:65]
	v_fma_f64 v[6:7], v[58:59], s[0:1], v[44:45]
	v_fma_f64 v[12:13], v[60:61], s[0:1], v[62:63]
	v_add_f64 v[58:59], v[0:1], -v[74:75]
	v_fma_f64 v[44:45], v[16:17], -0.5, v[76:77]
	v_fma_f64 v[16:17], v[60:61], s[0:1], v[56:57]
	v_add_f64 v[48:49], v[48:49], v[50:51]
	v_fma_f64 v[50:51], v[78:79], s[6:7], v[80:81]
	v_fma_f64 v[60:61], v[78:79], s[8:9], v[80:81]
	v_add_f64 v[56:57], v[66:67], v[82:83]
	v_add_f64 v[62:63], v[68:69], -v[52:53]
	v_add_f64 v[66:67], v[64:65], -v[70:71]
	v_fma_f64 v[80:81], v[58:59], s[8:9], v[44:45]
	v_fma_f64 v[82:83], v[58:59], s[6:7], v[44:45]
	v_add_f64 v[76:77], v[68:69], v[76:77]
	v_fma_f64 v[50:51], v[58:59], s[2:3], v[50:51]
	v_add_f64 v[44:45], v[48:49], v[54:55]
	;; [unrolled: 2-line block ×3, first 2 shown]
	v_add_f64 v[60:61], v[62:63], v[66:67]
	v_fma_f64 v[62:63], v[78:79], s[2:3], v[80:81]
	v_fma_f64 v[66:67], v[78:79], s[4:5], v[82:83]
	v_add_f64 v[78:79], v[10:11], v[72:73]
	v_add_f64 v[76:77], v[52:53], v[76:77]
	v_add_f64 v[52:53], v[52:53], -v[70:71]
	v_fma_f64 v[54:55], v[56:57], s[0:1], v[48:49]
	v_fma_f64 v[48:49], v[58:59], -0.5, v[28:29]
	v_fma_f64 v[50:51], v[56:57], s[0:1], v[50:51]
	v_fma_f64 v[58:59], v[60:61], s[0:1], v[62:63]
	;; [unrolled: 1-line block ×3, first 2 shown]
	v_add_f64 v[60:61], v[68:69], -v[64:65]
	v_fma_f64 v[66:67], v[78:79], -0.5, v[28:29]
	v_add_f64 v[28:29], v[28:29], v[0:1]
	v_add_f64 v[56:57], v[70:71], v[76:77]
	v_add_f64 v[68:69], v[10:11], -v[0:1]
	v_add_f64 v[70:71], v[72:73], -v[74:75]
	v_fma_f64 v[76:77], v[52:53], s[8:9], v[48:49]
	v_fma_f64 v[48:49], v[52:53], s[6:7], v[48:49]
	v_add_f64 v[0:1], v[0:1], -v[10:11]
	v_add_f64 v[78:79], v[74:75], -v[72:73]
	v_fma_f64 v[80:81], v[60:61], s[6:7], v[66:67]
	v_fma_f64 v[82:83], v[60:61], s[8:9], v[66:67]
	v_add_f64 v[10:11], v[10:11], v[28:29]
	v_add_f64 v[66:67], v[64:65], v[56:57]
	;; [unrolled: 1-line block ×3, first 2 shown]
	v_fma_f64 v[28:29], v[60:61], s[4:5], v[76:77]
	v_fma_f64 v[60:61], v[60:61], s[2:3], v[48:49]
	v_add_f64 v[0:1], v[0:1], v[78:79]
	v_fma_f64 v[64:65], v[52:53], s[4:5], v[80:81]
	v_fma_f64 v[68:69], v[52:53], s[2:3], v[82:83]
	s_mov_b32 s2, 0xa0a0a0a1
	v_mul_hi_u32 v38, v144, s2
	v_add_f64 v[10:11], v[10:11], v[72:73]
	v_fma_f64 v[48:49], v[56:57], s[0:1], v[28:29]
	s_movk_i32 s3, 0xcc
	v_lshrrev_b32_e32 v28, 7, v38
	v_mul_lo_u32 v28, v28, s3
	v_fma_f64 v[52:53], v[56:57], s[0:1], v[60:61]
	v_fma_f64 v[56:57], v[0:1], s[0:1], v[64:65]
	;; [unrolled: 1-line block ×3, first 2 shown]
	v_lshlrev_b64 v[0:1], 4, v[110:111]
	v_add_f64 v[64:65], v[10:11], v[74:75]
	v_sub_u32_e32 v10, v144, v28
	v_mov_b32_e32 v11, s11
	v_add_co_u32_e32 v28, vcc, s10, v0
	v_addc_co_u32_e32 v11, vcc, v11, v1, vcc
	v_lshlrev_b64 v[0:1], 4, v[96:97]
	v_add_u32_e32 v38, 0x44, v144
	v_add_co_u32_e32 v28, vcc, v28, v0
	v_addc_co_u32_e32 v29, vcc, v11, v1, vcc
	v_lshlrev_b32_e32 v0, 4, v10
	v_add_co_u32_e32 v0, vcc, v28, v0
	v_addc_co_u32_e32 v1, vcc, 0, v29, vcc
	global_store_dwordx4 v[0:1], v[64:67], off
	global_store_dwordx4 v[0:1], v[60:63], off offset:3264
	v_add_co_u32_e32 v10, vcc, s12, v0
	v_mul_hi_u32 v60, v38, s2
	v_addc_co_u32_e32 v11, vcc, 0, v1, vcc
	global_store_dwordx4 v[10:11], v[52:55], off offset:2432
	s_movk_i32 s0, 0x2000
	v_lshrrev_b32_e32 v52, 7, v60
	v_mul_lo_u32 v53, v52, s3
	v_add_co_u32_e32 v10, vcc, s0, v0
	v_addc_co_u32_e32 v11, vcc, 0, v1, vcc
	global_store_dwordx4 v[10:11], v[48:51], off offset:1600
	v_sub_u32_e32 v10, v38, v53
	s_movk_i32 s5, 0x3fc
	v_mad_u64_u32 v[10:11], s[0:1], v52, s5, v[10:11]
	s_movk_i32 s4, 0x3000
	v_add_co_u32_e32 v0, vcc, s4, v0
	v_addc_co_u32_e32 v1, vcc, 0, v1, vcc
	v_mov_b32_e32 v11, v39
	global_store_dwordx4 v[0:1], v[56:59], off offset:768
	v_lshlrev_b64 v[0:1], 4, v[10:11]
	v_add_u32_e32 v38, 0xcc, v10
	v_add_co_u32_e32 v0, vcc, v28, v0
	v_addc_co_u32_e32 v1, vcc, v29, v1, vcc
	global_store_dwordx4 v[0:1], v[44:47], off
	v_lshlrev_b64 v[0:1], 4, v[38:39]
	v_add_u32_e32 v38, 0x198, v10
	v_add_co_u32_e32 v0, vcc, v28, v0
	v_addc_co_u32_e32 v1, vcc, v29, v1, vcc
	global_store_dwordx4 v[0:1], v[16:19], off
	;; [unrolled: 5-line block ×3, first 2 shown]
	v_lshlrev_b64 v[0:1], 4, v[38:39]
	v_add_u32_e32 v6, 0x88, v144
	v_mul_hi_u32 v7, v6, s2
	v_add_co_u32_e32 v0, vcc, v28, v0
	v_addc_co_u32_e32 v1, vcc, v29, v1, vcc
	v_lshrrev_b32_e32 v7, 7, v7
	v_mul_lo_u32 v8, v7, s3
	v_add_u32_e32 v38, 0x330, v10
	global_store_dwordx4 v[0:1], v[40:43], off
	v_lshlrev_b64 v[0:1], 4, v[38:39]
	v_sub_u32_e32 v6, v6, v8
	v_mad_u64_u32 v[6:7], s[0:1], v7, s5, v[6:7]
	v_add_co_u32_e32 v0, vcc, v28, v0
	v_addc_co_u32_e32 v1, vcc, v29, v1, vcc
	v_mov_b32_e32 v7, v39
	global_store_dwordx4 v[0:1], v[12:15], off
	v_lshlrev_b64 v[0:1], 4, v[6:7]
	v_add_u32_e32 v38, 0xcc, v6
	v_add_co_u32_e32 v0, vcc, v28, v0
	v_addc_co_u32_e32 v1, vcc, v29, v1, vcc
	global_store_dwordx4 v[0:1], v[2:5], off
	v_lshlrev_b64 v[0:1], 4, v[38:39]
	v_add_u32_e32 v38, 0x198, v6
	v_add_co_u32_e32 v0, vcc, v28, v0
	v_addc_co_u32_e32 v1, vcc, v29, v1, vcc
	;; [unrolled: 5-line block ×4, first 2 shown]
	global_store_dwordx4 v[0:1], v[30:33], off
	v_lshlrev_b64 v[0:1], 4, v[38:39]
	v_add_co_u32_e32 v0, vcc, v28, v0
	v_addc_co_u32_e32 v1, vcc, v29, v1, vcc
	global_store_dwordx4 v[0:1], v[20:23], off
.LBB0_36:
	s_endpgm
	.section	.rodata,"a",@progbits
	.p2align	6, 0x0
	.amdhsa_kernel fft_rtc_back_len1020_factors_2_17_2_3_5_wgs_204_tpt_68_halfLds_dp_op_CI_CI_unitstride_sbrr_dirReg
		.amdhsa_group_segment_fixed_size 0
		.amdhsa_private_segment_fixed_size 0
		.amdhsa_kernarg_size 104
		.amdhsa_user_sgpr_count 6
		.amdhsa_user_sgpr_private_segment_buffer 1
		.amdhsa_user_sgpr_dispatch_ptr 0
		.amdhsa_user_sgpr_queue_ptr 0
		.amdhsa_user_sgpr_kernarg_segment_ptr 1
		.amdhsa_user_sgpr_dispatch_id 0
		.amdhsa_user_sgpr_flat_scratch_init 0
		.amdhsa_user_sgpr_private_segment_size 0
		.amdhsa_uses_dynamic_stack 0
		.amdhsa_system_sgpr_private_segment_wavefront_offset 0
		.amdhsa_system_sgpr_workgroup_id_x 1
		.amdhsa_system_sgpr_workgroup_id_y 0
		.amdhsa_system_sgpr_workgroup_id_z 0
		.amdhsa_system_sgpr_workgroup_info 0
		.amdhsa_system_vgpr_workitem_id 0
		.amdhsa_next_free_vgpr 232
		.amdhsa_next_free_sgpr 60
		.amdhsa_reserve_vcc 1
		.amdhsa_reserve_flat_scratch 0
		.amdhsa_float_round_mode_32 0
		.amdhsa_float_round_mode_16_64 0
		.amdhsa_float_denorm_mode_32 3
		.amdhsa_float_denorm_mode_16_64 3
		.amdhsa_dx10_clamp 1
		.amdhsa_ieee_mode 1
		.amdhsa_fp16_overflow 0
		.amdhsa_exception_fp_ieee_invalid_op 0
		.amdhsa_exception_fp_denorm_src 0
		.amdhsa_exception_fp_ieee_div_zero 0
		.amdhsa_exception_fp_ieee_overflow 0
		.amdhsa_exception_fp_ieee_underflow 0
		.amdhsa_exception_fp_ieee_inexact 0
		.amdhsa_exception_int_div_zero 0
	.end_amdhsa_kernel
	.text
.Lfunc_end0:
	.size	fft_rtc_back_len1020_factors_2_17_2_3_5_wgs_204_tpt_68_halfLds_dp_op_CI_CI_unitstride_sbrr_dirReg, .Lfunc_end0-fft_rtc_back_len1020_factors_2_17_2_3_5_wgs_204_tpt_68_halfLds_dp_op_CI_CI_unitstride_sbrr_dirReg
                                        ; -- End function
	.section	.AMDGPU.csdata,"",@progbits
; Kernel info:
; codeLenInByte = 15944
; NumSgprs: 64
; NumVgprs: 232
; ScratchSize: 0
; MemoryBound: 1
; FloatMode: 240
; IeeeMode: 1
; LDSByteSize: 0 bytes/workgroup (compile time only)
; SGPRBlocks: 7
; VGPRBlocks: 57
; NumSGPRsForWavesPerEU: 64
; NumVGPRsForWavesPerEU: 232
; Occupancy: 1
; WaveLimiterHint : 1
; COMPUTE_PGM_RSRC2:SCRATCH_EN: 0
; COMPUTE_PGM_RSRC2:USER_SGPR: 6
; COMPUTE_PGM_RSRC2:TRAP_HANDLER: 0
; COMPUTE_PGM_RSRC2:TGID_X_EN: 1
; COMPUTE_PGM_RSRC2:TGID_Y_EN: 0
; COMPUTE_PGM_RSRC2:TGID_Z_EN: 0
; COMPUTE_PGM_RSRC2:TIDIG_COMP_CNT: 0
	.type	__hip_cuid_c482749116b70abf,@object ; @__hip_cuid_c482749116b70abf
	.section	.bss,"aw",@nobits
	.globl	__hip_cuid_c482749116b70abf
__hip_cuid_c482749116b70abf:
	.byte	0                               ; 0x0
	.size	__hip_cuid_c482749116b70abf, 1

	.ident	"AMD clang version 19.0.0git (https://github.com/RadeonOpenCompute/llvm-project roc-6.4.0 25133 c7fe45cf4b819c5991fe208aaa96edf142730f1d)"
	.section	".note.GNU-stack","",@progbits
	.addrsig
	.addrsig_sym __hip_cuid_c482749116b70abf
	.amdgpu_metadata
---
amdhsa.kernels:
  - .args:
      - .actual_access:  read_only
        .address_space:  global
        .offset:         0
        .size:           8
        .value_kind:     global_buffer
      - .offset:         8
        .size:           8
        .value_kind:     by_value
      - .actual_access:  read_only
        .address_space:  global
        .offset:         16
        .size:           8
        .value_kind:     global_buffer
      - .actual_access:  read_only
        .address_space:  global
        .offset:         24
        .size:           8
        .value_kind:     global_buffer
      - .actual_access:  read_only
        .address_space:  global
        .offset:         32
        .size:           8
        .value_kind:     global_buffer
      - .offset:         40
        .size:           8
        .value_kind:     by_value
      - .actual_access:  read_only
        .address_space:  global
        .offset:         48
        .size:           8
        .value_kind:     global_buffer
      - .actual_access:  read_only
        .address_space:  global
        .offset:         56
        .size:           8
        .value_kind:     global_buffer
      - .offset:         64
        .size:           4
        .value_kind:     by_value
      - .actual_access:  read_only
        .address_space:  global
        .offset:         72
        .size:           8
        .value_kind:     global_buffer
      - .actual_access:  read_only
        .address_space:  global
        .offset:         80
        .size:           8
        .value_kind:     global_buffer
      - .actual_access:  read_only
        .address_space:  global
        .offset:         88
        .size:           8
        .value_kind:     global_buffer
      - .actual_access:  write_only
        .address_space:  global
        .offset:         96
        .size:           8
        .value_kind:     global_buffer
    .group_segment_fixed_size: 0
    .kernarg_segment_align: 8
    .kernarg_segment_size: 104
    .language:       OpenCL C
    .language_version:
      - 2
      - 0
    .max_flat_workgroup_size: 204
    .name:           fft_rtc_back_len1020_factors_2_17_2_3_5_wgs_204_tpt_68_halfLds_dp_op_CI_CI_unitstride_sbrr_dirReg
    .private_segment_fixed_size: 0
    .sgpr_count:     64
    .sgpr_spill_count: 0
    .symbol:         fft_rtc_back_len1020_factors_2_17_2_3_5_wgs_204_tpt_68_halfLds_dp_op_CI_CI_unitstride_sbrr_dirReg.kd
    .uniform_work_group_size: 1
    .uses_dynamic_stack: false
    .vgpr_count:     232
    .vgpr_spill_count: 0
    .wavefront_size: 64
amdhsa.target:   amdgcn-amd-amdhsa--gfx906
amdhsa.version:
  - 1
  - 2
...

	.end_amdgpu_metadata
